;; amdgpu-corpus repo=ROCm/rocFFT kind=compiled arch=gfx906 opt=O3
	.text
	.amdgcn_target "amdgcn-amd-amdhsa--gfx906"
	.amdhsa_code_object_version 6
	.protected	bluestein_single_back_len1836_dim1_dp_op_CI_CI ; -- Begin function bluestein_single_back_len1836_dim1_dp_op_CI_CI
	.globl	bluestein_single_back_len1836_dim1_dp_op_CI_CI
	.p2align	8
	.type	bluestein_single_back_len1836_dim1_dp_op_CI_CI,@function
bluestein_single_back_len1836_dim1_dp_op_CI_CI: ; @bluestein_single_back_len1836_dim1_dp_op_CI_CI
; %bb.0:
	s_mov_b64 s[66:67], s[2:3]
	s_mov_b64 s[64:65], s[0:1]
	s_load_dwordx4 s[0:3], s[4:5], 0x28
	v_mul_u32_u24_e32 v1, 0x1ad, v0
	v_add_u32_sdwa v194, s6, v1 dst_sel:DWORD dst_unused:UNUSED_PAD src0_sel:DWORD src1_sel:WORD_1
	v_mov_b32_e32 v195, 0
	s_add_u32 s64, s64, s7
	s_waitcnt lgkmcnt(0)
	v_cmp_gt_u64_e32 vcc, s[0:1], v[194:195]
	s_addc_u32 s65, s65, 0
	s_and_saveexec_b64 s[0:1], vcc
	s_cbranch_execz .LBB0_15
; %bb.1:
	s_load_dwordx2 s[12:13], s[4:5], 0x0
	s_load_dwordx2 s[14:15], s[4:5], 0x38
	s_movk_i32 s0, 0x99
	v_mul_lo_u16_sdwa v1, v1, s0 dst_sel:DWORD dst_unused:UNUSED_PAD src0_sel:WORD_1 src1_sel:DWORD
	v_sub_u16_e32 v228, v0, v1
	s_movk_i32 s0, 0x6c
	v_cmp_gt_u16_e64 s[0:1], s0, v228
	v_lshlrev_b32_e32 v255, 4, v228
	s_and_saveexec_b64 s[6:7], s[0:1]
	s_cbranch_execz .LBB0_3
; %bb.2:
	s_load_dwordx2 s[8:9], s[4:5], 0x18
	s_waitcnt lgkmcnt(0)
	s_load_dwordx4 s[8:11], s[8:9], 0x0
	s_waitcnt lgkmcnt(0)
	v_mad_u64_u32 v[0:1], s[16:17], s10, v194, 0
	v_mad_u64_u32 v[2:3], s[16:17], s8, v228, 0
	;; [unrolled: 1-line block ×4, first 2 shown]
	v_mov_b32_e32 v1, v4
	v_lshlrev_b64 v[0:1], 4, v[0:1]
	v_mov_b32_e32 v3, v5
	v_mov_b32_e32 v6, s3
	v_lshlrev_b64 v[2:3], 4, v[2:3]
	v_add_co_u32_e32 v0, vcc, s2, v0
	v_addc_co_u32_e32 v1, vcc, v6, v1, vcc
	v_add_co_u32_e32 v18, vcc, v0, v2
	v_addc_co_u32_e32 v19, vcc, v1, v3, vcc
	v_mov_b32_e32 v0, s13
	v_add_co_u32_e32 v16, vcc, s12, v255
	s_mul_i32 s2, s9, 0x6c0
	s_mul_hi_u32 s3, s8, 0x6c0
	v_addc_co_u32_e32 v17, vcc, 0, v0, vcc
	s_add_i32 s2, s3, s2
	s_mul_i32 s3, s8, 0x6c0
	v_mov_b32_e32 v0, s2
	v_add_co_u32_e32 v20, vcc, s3, v18
	v_addc_co_u32_e32 v21, vcc, v19, v0, vcc
	global_load_dwordx4 v[0:3], v[18:19], off
	global_load_dwordx4 v[4:7], v[20:21], off
	global_load_dwordx4 v[8:11], v255, s[12:13]
	global_load_dwordx4 v[12:15], v255, s[12:13] offset:1728
	v_mov_b32_e32 v18, s2
	v_add_co_u32_e32 v30, vcc, s3, v20
	v_addc_co_u32_e32 v31, vcc, v21, v18, vcc
	v_mov_b32_e32 v22, s2
	v_add_co_u32_e32 v32, vcc, s3, v30
	v_addc_co_u32_e32 v33, vcc, v31, v22, vcc
	s_movk_i32 s8, 0x1000
	v_add_co_u32_e32 v42, vcc, s8, v16
	v_addc_co_u32_e32 v43, vcc, 0, v17, vcc
	global_load_dwordx4 v[18:21], v255, s[12:13] offset:3456
	global_load_dwordx4 v[22:25], v[30:31], off
	global_load_dwordx4 v[26:29], v[32:33], off
	v_mov_b32_e32 v30, s2
	v_add_co_u32_e32 v44, vcc, s3, v32
	v_addc_co_u32_e32 v45, vcc, v33, v30, vcc
	global_load_dwordx4 v[30:33], v[44:45], off
	global_load_dwordx4 v[34:37], v[42:43], off offset:1088
	global_load_dwordx4 v[38:41], v[42:43], off offset:2816
	v_mov_b32_e32 v42, s2
	v_add_co_u32_e32 v54, vcc, s3, v44
	v_addc_co_u32_e32 v55, vcc, v45, v42, vcc
	s_movk_i32 s8, 0x2000
	v_add_co_u32_e32 v66, vcc, s8, v16
	v_addc_co_u32_e32 v67, vcc, 0, v17, vcc
	v_mov_b32_e32 v56, s2
	v_add_co_u32_e32 v58, vcc, s3, v54
	v_addc_co_u32_e32 v59, vcc, v55, v56, vcc
	v_mov_b32_e32 v60, s2
	v_add_co_u32_e32 v68, vcc, s3, v58
	v_addc_co_u32_e32 v69, vcc, v59, v60, vcc
	global_load_dwordx4 v[42:45], v[54:55], off
	global_load_dwordx4 v[46:49], v[66:67], off offset:448
	global_load_dwordx4 v[50:53], v[66:67], off offset:2176
	v_add_co_u32_e32 v70, vcc, s3, v68
	global_load_dwordx4 v[54:57], v[58:59], off
	s_nop 0
	global_load_dwordx4 v[58:61], v[68:69], off
	global_load_dwordx4 v[62:65], v[66:67], off offset:3904
	v_mov_b32_e32 v66, s2
	v_addc_co_u32_e32 v71, vcc, v69, v66, vcc
	s_movk_i32 s8, 0x3000
	v_add_co_u32_e32 v82, vcc, s8, v16
	v_addc_co_u32_e32 v83, vcc, 0, v17, vcc
	v_mov_b32_e32 v72, s2
	v_add_co_u32_e32 v84, vcc, s3, v70
	v_addc_co_u32_e32 v85, vcc, v71, v72, vcc
	global_load_dwordx4 v[66:69], v[70:71], off
	s_nop 0
	global_load_dwordx4 v[70:73], v[84:85], off
	global_load_dwordx4 v[74:77], v[82:83], off offset:1536
	global_load_dwordx4 v[78:81], v[82:83], off offset:3264
	v_mov_b32_e32 v82, s2
	v_add_co_u32_e32 v86, vcc, s3, v84
	v_addc_co_u32_e32 v87, vcc, v85, v82, vcc
	s_movk_i32 s8, 0x4000
	v_add_co_u32_e32 v98, vcc, s8, v16
	v_addc_co_u32_e32 v99, vcc, 0, v17, vcc
	v_mov_b32_e32 v88, s2
	v_add_co_u32_e32 v100, vcc, s3, v86
	v_addc_co_u32_e32 v101, vcc, v87, v88, vcc
	global_load_dwordx4 v[82:85], v[86:87], off
	s_nop 0
	global_load_dwordx4 v[86:89], v[100:101], off
	global_load_dwordx4 v[90:93], v[98:99], off offset:896
	global_load_dwordx4 v[94:97], v[98:99], off offset:2624
	v_mov_b32_e32 v98, s2
	v_add_co_u32_e32 v102, vcc, s3, v100
	v_addc_co_u32_e32 v103, vcc, v101, v98, vcc
	s_movk_i32 s8, 0x5000
	v_add_co_u32_e32 v118, vcc, s8, v16
	v_addc_co_u32_e32 v119, vcc, 0, v17, vcc
	v_mov_b32_e32 v104, s2
	v_add_co_u32_e32 v114, vcc, s3, v102
	v_addc_co_u32_e32 v115, vcc, v103, v104, vcc
	v_mov_b32_e32 v116, s2
	;; [unrolled: 3-line block ×3, first 2 shown]
	v_add_co_u32_e32 v126, vcc, s3, v122
	v_addc_co_u32_e32 v127, vcc, v123, v124, vcc
	s_movk_i32 s8, 0x6000
	global_load_dwordx4 v[98:101], v[102:103], off
	v_add_co_u32_e32 v16, vcc, s8, v16
	global_load_dwordx4 v[102:105], v[114:115], off
	global_load_dwordx4 v[106:109], v[118:119], off offset:256
	global_load_dwordx4 v[110:113], v[118:119], off offset:1984
	v_addc_co_u32_e32 v17, vcc, 0, v17, vcc
	global_load_dwordx4 v[114:117], v[122:123], off
	s_nop 0
	global_load_dwordx4 v[118:121], v[118:119], off offset:3712
	v_mov_b32_e32 v128, s2
	v_add_co_u32_e32 v130, vcc, s3, v126
	global_load_dwordx4 v[122:125], v[126:127], off
	v_addc_co_u32_e32 v131, vcc, v127, v128, vcc
	global_load_dwordx4 v[126:129], v[16:17], off offset:1344
	s_nop 0
	global_load_dwordx4 v[130:133], v[130:131], off
	s_nop 0
	global_load_dwordx4 v[134:137], v[16:17], off offset:3072
	s_waitcnt vmcnt(31)
	v_mul_f64 v[16:17], v[2:3], v[10:11]
	v_mul_f64 v[10:11], v[0:1], v[10:11]
	s_waitcnt vmcnt(30)
	v_mul_f64 v[138:139], v[6:7], v[14:15]
	v_mul_f64 v[14:15], v[4:5], v[14:15]
	;; [unrolled: 3-line block ×6, first 2 shown]
	v_fma_f64 v[2:3], v[2:3], v[8:9], -v[10:11]
	v_fma_f64 v[4:5], v[4:5], v[12:13], v[138:139]
	v_fma_f64 v[6:7], v[6:7], v[12:13], -v[14:15]
	v_fma_f64 v[10:11], v[24:25], v[18:19], -v[20:21]
	v_fma_f64 v[12:13], v[26:27], v[34:35], v[142:143]
	s_waitcnt vmcnt(20)
	v_mul_f64 v[24:25], v[56:57], v[52:53]
	v_mul_f64 v[26:27], v[54:55], v[52:53]
	v_fma_f64 v[0:1], v[0:1], v[8:9], v[16:17]
	v_fma_f64 v[14:15], v[28:29], v[34:35], -v[36:37]
	v_fma_f64 v[16:17], v[30:31], v[38:39], v[144:145]
	s_waitcnt vmcnt(18)
	v_mul_f64 v[28:29], v[60:61], v[64:65]
	v_mul_f64 v[30:31], v[58:59], v[64:65]
	v_fma_f64 v[8:9], v[22:23], v[18:19], v[140:141]
	v_fma_f64 v[18:19], v[32:33], v[38:39], -v[40:41]
	s_waitcnt vmcnt(15)
	v_mul_f64 v[32:33], v[68:69], v[76:77]
	v_mul_f64 v[34:35], v[66:67], v[76:77]
	v_fma_f64 v[20:21], v[42:43], v[46:47], v[146:147]
	v_fma_f64 v[22:23], v[44:45], v[46:47], -v[48:49]
	v_fma_f64 v[24:25], v[54:55], v[50:51], v[24:25]
	v_fma_f64 v[26:27], v[56:57], v[50:51], -v[26:27]
	ds_write_b128 v255, v[0:3]
	v_fma_f64 v[0:1], v[58:59], v[62:63], v[28:29]
	v_fma_f64 v[2:3], v[60:61], v[62:63], -v[30:31]
	v_fma_f64 v[28:29], v[66:67], v[74:75], v[32:33]
	v_fma_f64 v[30:31], v[68:69], v[74:75], -v[34:35]
	ds_write_b128 v255, v[4:7] offset:1728
	ds_write_b128 v255, v[8:11] offset:3456
	;; [unrolled: 1-line block ×8, first 2 shown]
	s_waitcnt vmcnt(14)
	v_mul_f64 v[0:1], v[72:73], v[80:81]
	v_mul_f64 v[2:3], v[70:71], v[80:81]
	s_waitcnt vmcnt(11)
	v_mul_f64 v[4:5], v[84:85], v[92:93]
	v_mul_f64 v[6:7], v[82:83], v[92:93]
	;; [unrolled: 3-line block ×3, first 2 shown]
	v_fma_f64 v[0:1], v[70:71], v[78:79], v[0:1]
	v_fma_f64 v[2:3], v[72:73], v[78:79], -v[2:3]
	v_fma_f64 v[4:5], v[82:83], v[90:91], v[4:5]
	v_fma_f64 v[6:7], v[84:85], v[90:91], -v[6:7]
	;; [unrolled: 2-line block ×3, first 2 shown]
	s_waitcnt vmcnt(7)
	v_mul_f64 v[12:13], v[100:101], v[108:109]
	v_mul_f64 v[14:15], v[98:99], v[108:109]
	s_waitcnt vmcnt(6)
	v_mul_f64 v[16:17], v[104:105], v[112:113]
	v_mul_f64 v[18:19], v[102:103], v[112:113]
	;; [unrolled: 3-line block ×3, first 2 shown]
	v_fma_f64 v[12:13], v[98:99], v[106:107], v[12:13]
	s_waitcnt vmcnt(2)
	v_mul_f64 v[24:25], v[124:125], v[128:129]
	v_mul_f64 v[26:27], v[122:123], v[128:129]
	s_waitcnt vmcnt(0)
	v_mul_f64 v[28:29], v[132:133], v[136:137]
	v_mul_f64 v[30:31], v[130:131], v[136:137]
	v_fma_f64 v[14:15], v[100:101], v[106:107], -v[14:15]
	v_fma_f64 v[16:17], v[102:103], v[110:111], v[16:17]
	v_fma_f64 v[18:19], v[104:105], v[110:111], -v[18:19]
	v_fma_f64 v[20:21], v[114:115], v[118:119], v[20:21]
	;; [unrolled: 2-line block ×4, first 2 shown]
	v_fma_f64 v[30:31], v[132:133], v[134:135], -v[30:31]
	ds_write_b128 v255, v[0:3] offset:15552
	ds_write_b128 v255, v[4:7] offset:17280
	;; [unrolled: 1-line block ×8, first 2 shown]
.LBB0_3:
	s_or_b64 exec, exec, s[6:7]
	s_load_dwordx2 s[6:7], s[4:5], 0x20
	s_load_dwordx2 s[2:3], s[4:5], 0x8
	s_waitcnt lgkmcnt(0)
	s_barrier
	s_waitcnt lgkmcnt(0)
                                        ; implicit-def: $vgpr20_vgpr21
                                        ; implicit-def: $vgpr80_vgpr81
                                        ; implicit-def: $vgpr84_vgpr85
                                        ; implicit-def: $vgpr76_vgpr77
                                        ; implicit-def: $vgpr72_vgpr73
                                        ; implicit-def: $vgpr68_vgpr69
                                        ; implicit-def: $vgpr24_vgpr25
                                        ; implicit-def: $vgpr28_vgpr29
                                        ; implicit-def: $vgpr32_vgpr33
                                        ; implicit-def: $vgpr36_vgpr37
                                        ; implicit-def: $vgpr40_vgpr41
                                        ; implicit-def: $vgpr44_vgpr45
                                        ; implicit-def: $vgpr48_vgpr49
                                        ; implicit-def: $vgpr52_vgpr53
                                        ; implicit-def: $vgpr56_vgpr57
                                        ; implicit-def: $vgpr60_vgpr61
                                        ; implicit-def: $vgpr64_vgpr65
	s_and_saveexec_b64 s[4:5], s[0:1]
	s_cbranch_execz .LBB0_5
; %bb.4:
	ds_read_b128 v[20:23], v255
	ds_read_b128 v[80:83], v255 offset:1728
	ds_read_b128 v[84:87], v255 offset:3456
	;; [unrolled: 1-line block ×16, first 2 shown]
.LBB0_5:
	s_or_b64 exec, exec, s[4:5]
	s_waitcnt lgkmcnt(1)
	v_add_f64 v[152:153], v[84:85], -v[60:61]
	s_mov_b32 s20, 0x2a9d6da3
	s_mov_b32 s21, 0xbfe58eea
	v_add_f64 v[180:181], v[78:79], -v[58:59]
	v_add_f64 v[178:179], v[76:77], -v[56:57]
	s_mov_b32 s28, 0x7c9e640b
	s_mov_b32 s29, 0xbfeca52d
	s_waitcnt lgkmcnt(0)
	v_add_f64 v[136:137], v[82:83], -v[66:67]
	v_mul_f64 v[6:7], v[152:153], s[20:21]
	v_add_f64 v[130:131], v[80:81], -v[64:65]
	s_mov_b32 s18, 0x5d8e7cdc
	v_mul_f64 v[8:9], v[180:181], s[28:29]
	v_mul_f64 v[10:11], v[178:179], s[28:29]
	s_mov_b32 s19, 0xbfd71e95
	v_add_f64 v[106:107], v[80:81], v[64:65]
	v_add_f64 v[112:113], v[82:83], v[66:67]
	buffer_store_dword v6, off, s[64:67], 0 offset:48 ; 4-byte Folded Spill
	s_nop 0
	buffer_store_dword v7, off, s[64:67], 0 offset:52 ; 4-byte Folded Spill
	buffer_store_dword v8, off, s[64:67], 0 offset:32 ; 4-byte Folded Spill
	s_nop 0
	buffer_store_dword v9, off, s[64:67], 0 offset:36 ; 4-byte Folded Spill
	;; [unrolled: 3-line block ×3, first 2 shown]
	v_mul_f64 v[96:97], v[136:137], s[18:19]
	v_mul_f64 v[98:99], v[130:131], s[18:19]
	v_add_f64 v[154:155], v[86:87], -v[62:63]
	s_mov_b32 s4, 0x370991
	s_mov_b32 s5, 0x3fedd6d0
	v_add_f64 v[120:121], v[84:85], v[60:61]
	v_add_f64 v[128:129], v[86:87], v[62:63]
	s_mov_b32 s8, 0x75d4884
	v_fma_f64 v[0:1], v[106:107], s[4:5], v[96:97]
	v_fma_f64 v[2:3], v[112:113], s[4:5], -v[98:99]
	v_mul_f64 v[210:211], v[154:155], s[20:21]
	s_mov_b32 s9, 0x3fe7a5f6
	v_add_f64 v[126:127], v[76:77], v[56:57]
	v_add_f64 v[182:183], v[74:75], -v[54:55]
	v_add_f64 v[140:141], v[78:79], v[58:59]
	v_add_f64 v[190:191], v[72:73], -v[52:53]
	v_add_f64 v[0:1], v[20:21], v[0:1]
	v_add_f64 v[2:3], v[22:23], v[2:3]
	v_fma_f64 v[4:5], v[120:121], s[8:9], v[210:211]
	s_mov_b32 s10, 0x2b2883cd
	s_mov_b32 s36, 0xeb564b22
	;; [unrolled: 1-line block ×4, first 2 shown]
	v_add_f64 v[142:143], v[74:75], v[54:55]
	v_add_f64 v[208:209], v[70:71], -v[50:51]
	s_mov_b32 s16, 0x3259b75e
	v_add_f64 v[0:1], v[4:5], v[0:1]
	s_mov_b32 s38, 0x923c349f
	s_mov_b32 s17, 0x3fb79ee6
	;; [unrolled: 1-line block ×3, first 2 shown]
	v_add_f64 v[138:139], v[72:73], v[52:53]
	v_add_f64 v[148:149], v[68:69], v[48:49]
	;; [unrolled: 1-line block ×3, first 2 shown]
	v_add_f64 v[218:219], v[26:27], -v[46:47]
	v_add_f64 v[212:213], v[24:25], -v[44:45]
	s_mov_b32 s22, 0xc61f0d01
	s_mov_b32 s40, 0x6c9a05f6
	;; [unrolled: 1-line block ×4, first 2 shown]
	v_add_f64 v[156:157], v[24:25], v[44:45]
	v_add_f64 v[158:159], v[26:27], v[46:47]
	v_add_f64 v[224:225], v[30:31], -v[42:43]
	v_add_f64 v[222:223], v[28:29], -v[40:41]
	s_mov_b32 s24, 0x6ed5f1bb
	s_mov_b32 s44, 0x4363dd80
	s_mov_b32 s25, 0xbfe348c8
	s_mov_b32 s45, 0x3fe0d888
	s_mov_b32 s43, 0xbfe0d888
	s_mov_b32 s42, s44
	v_add_f64 v[166:167], v[28:29], v[40:41]
	v_add_f64 v[170:171], v[30:31], v[42:43]
	s_mov_b32 s26, 0x910ea3b9
	s_mov_b32 s27, 0xbfeb34fa
	v_mul_f64 v[18:19], v[180:181], s[40:41]
	v_mul_f64 v[88:89], v[178:179], s[40:41]
	v_add_f64 v[243:244], v[34:35], -v[38:39]
	v_add_f64 v[241:242], v[32:33], -v[36:37]
	s_mov_b32 s46, 0xacd6c6b4
	s_mov_b32 s47, 0xbfc7851a
	;; [unrolled: 1-line block ×4, first 2 shown]
	v_mul_f64 v[90:91], v[136:137], s[28:29]
	v_add_f64 v[186:187], v[32:33], v[36:37]
	v_mul_f64 v[14:15], v[243:244], s[46:47]
	v_mul_f64 v[16:17], v[241:242], s[46:47]
	v_add_f64 v[188:189], v[34:35], v[38:39]
	s_mov_b32 s49, 0x3feec746
	s_mov_b32 s48, s38
	s_mov_b32 s53, 0x3fc7851a
	s_mov_b32 s52, s46
	s_mov_b32 s51, 0x3feca52d
	s_mov_b32 s50, s28
	s_mov_b32 s55, 0x3fe58eea
	s_mov_b32 s54, s20
	v_fma_f64 v[6:7], v[128:129], s[8:9], -v[6:7]
	s_mov_b32 s57, 0x3fd71e95
	s_mov_b32 s56, s18
	v_fma_f64 v[4:5], v[126:127], s[10:11], v[8:9]
	v_mul_f64 v[8:9], v[182:183], s[36:37]
	v_mul_f64 v[220:221], v[130:131], s[28:29]
	;; [unrolled: 1-line block ×4, first 2 shown]
	v_add_f64 v[2:3], v[6:7], v[2:3]
	v_fma_f64 v[6:7], v[140:141], s[10:11], -v[10:11]
	v_mul_f64 v[10:11], v[190:191], s[36:37]
	buffer_store_dword v8, off, s[64:67], 0 offset:64 ; 4-byte Folded Spill
	s_nop 0
	buffer_store_dword v9, off, s[64:67], 0 offset:68 ; 4-byte Folded Spill
	v_add_f64 v[0:1], v[4:5], v[0:1]
	v_add_f64 v[4:5], v[68:69], -v[48:49]
	v_mul_f64 v[226:227], v[182:183], s[48:49]
	buffer_store_dword v10, off, s[64:67], 0 offset:96 ; 4-byte Folded Spill
	s_nop 0
	buffer_store_dword v11, off, s[64:67], 0 offset:100 ; 4-byte Folded Spill
	v_add_f64 v[2:3], v[6:7], v[2:3]
	v_mul_f64 v[231:232], v[190:191], s[48:49]
	v_mul_f64 v[233:234], v[212:213], s[18:19]
	;; [unrolled: 1-line block ×9, first 2 shown]
	v_fma_f64 v[92:93], v[158:159], s[4:5], -v[233:234]
	v_mul_f64 v[102:103], v[180:181], s[48:49]
	v_mul_f64 v[116:117], v[178:179], s[48:49]
	v_fma_f64 v[94:95], v[170:171], s[16:17], -v[239:240]
	v_mul_f64 v[100:101], v[182:183], s[56:57]
	v_mul_f64 v[114:115], v[190:191], s[56:57]
	;; [unrolled: 1-line block ×6, first 2 shown]
	s_mov_b32 s61, 0x3fe9895b
	s_mov_b32 s60, s40
	v_mul_f64 v[251:252], v[224:225], s[60:61]
	v_mul_f64 v[124:125], v[222:223], s[60:61]
	;; [unrolled: 1-line block ×12, first 2 shown]
	s_mov_b32 s59, 0x3fefdd0d
	s_mov_b32 s58, s36
	v_mul_f64 v[164:165], v[218:219], s[58:59]
	v_mul_f64 v[192:193], v[212:213], s[58:59]
	;; [unrolled: 1-line block ×4, first 2 shown]
	v_fma_f64 v[8:9], v[138:139], s[16:17], v[8:9]
	v_fma_f64 v[6:7], v[142:143], s[16:17], -v[10:11]
	v_mul_f64 v[10:11], v[208:209], s[38:39]
	v_add_f64 v[0:1], v[8:9], v[0:1]
	buffer_store_dword v10, off, s[64:67], 0 offset:112 ; 4-byte Folded Spill
	s_nop 0
	buffer_store_dword v11, off, s[64:67], 0 offset:116 ; 4-byte Folded Spill
	buffer_store_dword v12, off, s[64:67], 0 offset:128 ; 4-byte Folded Spill
	s_nop 0
	buffer_store_dword v13, off, s[64:67], 0 offset:132 ; 4-byte Folded Spill
	v_add_f64 v[2:3], v[6:7], v[2:3]
	v_fma_f64 v[6:7], v[148:149], s[22:23], v[10:11]
	v_fma_f64 v[8:9], v[150:151], s[22:23], -v[12:13]
	v_mul_f64 v[10:11], v[218:219], s[40:41]
	v_mul_f64 v[12:13], v[212:213], s[40:41]
	buffer_store_dword v10, off, s[64:67], 0 offset:144 ; 4-byte Folded Spill
	s_nop 0
	buffer_store_dword v11, off, s[64:67], 0 offset:148 ; 4-byte Folded Spill
	buffer_store_dword v12, off, s[64:67], 0 offset:160 ; 4-byte Folded Spill
	s_nop 0
	buffer_store_dword v13, off, s[64:67], 0 offset:164 ; 4-byte Folded Spill
	v_add_f64 v[0:1], v[6:7], v[0:1]
	v_add_f64 v[2:3], v[8:9], v[2:3]
	v_fma_f64 v[6:7], v[156:157], s[24:25], v[10:11]
	v_fma_f64 v[8:9], v[158:159], s[24:25], -v[12:13]
	v_mul_f64 v[10:11], v[224:225], s[42:43]
	v_mul_f64 v[12:13], v[222:223], s[42:43]
	buffer_store_dword v10, off, s[64:67], 0 offset:168 ; 4-byte Folded Spill
	s_nop 0
	buffer_store_dword v11, off, s[64:67], 0 offset:172 ; 4-byte Folded Spill
	buffer_store_dword v12, off, s[64:67], 0 offset:176 ; 4-byte Folded Spill
	s_nop 0
	buffer_store_dword v13, off, s[64:67], 0 offset:180 ; 4-byte Folded Spill
	v_add_f64 v[0:1], v[6:7], v[0:1]
	;; [unrolled: 12-line block ×3, first 2 shown]
	v_add_f64 v[2:3], v[8:9], v[2:3]
	v_fma_f64 v[6:7], v[106:107], s[8:9], v[10:11]
	v_mul_f64 v[10:11], v[154:155], s[36:37]
	v_fma_f64 v[8:9], v[112:113], s[8:9], -v[12:13]
	v_mul_f64 v[12:13], v[152:153], s[36:37]
	buffer_store_dword v10, off, s[64:67], 0 offset:224 ; 4-byte Folded Spill
	s_nop 0
	buffer_store_dword v11, off, s[64:67], 0 offset:228 ; 4-byte Folded Spill
	buffer_store_dword v12, off, s[64:67], 0 offset:336 ; 4-byte Folded Spill
	s_nop 0
	buffer_store_dword v13, off, s[64:67], 0 offset:340 ; 4-byte Folded Spill
	buffer_store_dword v18, off, s[64:67], 0 offset:240 ; 4-byte Folded Spill
	s_nop 0
	buffer_store_dword v19, off, s[64:67], 0 offset:244 ; 4-byte Folded Spill
	buffer_store_dword v88, off, s[64:67], 0 offset:320 ; 4-byte Folded Spill
	s_nop 0
	buffer_store_dword v89, off, s[64:67], 0 offset:324 ; 4-byte Folded Spill
	v_add_f64 v[6:7], v[20:21], v[6:7]
	v_add_f64 v[8:9], v[22:23], v[8:9]
	buffer_store_dword v14, off, s[64:67], 0 offset:184 ; 4-byte Folded Spill
	s_nop 0
	buffer_store_dword v15, off, s[64:67], 0 offset:188 ; 4-byte Folded Spill
	buffer_store_dword v16, off, s[64:67], 0 offset:192 ; 4-byte Folded Spill
	s_nop 0
	buffer_store_dword v17, off, s[64:67], 0 offset:196 ; 4-byte Folded Spill
	v_fma_f64 v[10:11], v[120:121], s[16:17], v[10:11]
	v_fma_f64 v[12:13], v[128:129], s[16:17], -v[12:13]
	v_fma_f64 v[14:15], v[186:187], s[30:31], v[14:15]
	v_add_f64 v[6:7], v[10:11], v[6:7]
	v_fma_f64 v[10:11], v[126:127], s[24:25], v[18:19]
	v_add_f64 v[8:9], v[12:13], v[8:9]
	v_fma_f64 v[12:13], v[140:141], s[24:25], -v[88:89]
	v_mul_f64 v[18:19], v[182:183], s[46:47]
	v_mul_f64 v[88:89], v[190:191], s[46:47]
	buffer_store_dword v18, off, s[64:67], 0 offset:248 ; 4-byte Folded Spill
	s_nop 0
	buffer_store_dword v19, off, s[64:67], 0 offset:252 ; 4-byte Folded Spill
	buffer_store_dword v88, off, s[64:67], 0 offset:304 ; 4-byte Folded Spill
	s_nop 0
	buffer_store_dword v89, off, s[64:67], 0 offset:308 ; 4-byte Folded Spill
	v_add_f64 v[6:7], v[10:11], v[6:7]
	v_add_f64 v[8:9], v[12:13], v[8:9]
	v_fma_f64 v[16:17], v[188:189], s[30:31], -v[16:17]
	v_add_f64 v[195:196], v[14:15], v[0:1]
	v_mul_f64 v[14:15], v[154:155], s[40:41]
	v_add_f64 v[197:198], v[16:17], v[2:3]
	v_fma_f64 v[16:17], v[128:129], s[24:25], -v[229:230]
	v_fma_f64 v[10:11], v[138:139], s[30:31], v[18:19]
	v_fma_f64 v[12:13], v[142:143], s[30:31], -v[88:89]
	v_mul_f64 v[18:19], v[208:209], s[44:45]
	v_mul_f64 v[88:89], v[4:5], s[44:45]
	buffer_store_dword v18, off, s[64:67], 0 offset:264 ; 4-byte Folded Spill
	s_nop 0
	buffer_store_dword v19, off, s[64:67], 0 offset:268 ; 4-byte Folded Spill
	buffer_store_dword v88, off, s[64:67], 0 offset:296 ; 4-byte Folded Spill
	s_nop 0
	buffer_store_dword v89, off, s[64:67], 0 offset:300 ; 4-byte Folded Spill
	;; [unrolled: 3-line block ×3, first 2 shown]
	v_add_f64 v[0:1], v[10:11], v[6:7]
	v_add_f64 v[2:3], v[12:13], v[8:9]
	buffer_store_dword v14, off, s[64:67], 0 offset:456 ; 4-byte Folded Spill
	s_nop 0
	buffer_store_dword v15, off, s[64:67], 0 offset:460 ; 4-byte Folded Spill
	v_fma_f64 v[12:13], v[112:113], s[10:11], -v[220:221]
	v_add_f64 v[12:13], v[22:23], v[12:13]
	v_add_f64 v[12:13], v[16:17], v[12:13]
	v_fma_f64 v[16:17], v[140:141], s[30:31], -v[235:236]
	v_add_f64 v[12:13], v[16:17], v[12:13]
	v_fma_f64 v[16:17], v[138:139], s[22:23], v[226:227]
	v_fma_f64 v[6:7], v[148:149], s[26:27], v[18:19]
	v_fma_f64 v[8:9], v[150:151], s[26:27], -v[88:89]
	v_fma_f64 v[10:11], v[106:107], s[10:11], v[90:91]
	v_mul_f64 v[18:19], v[218:219], s[48:49]
	v_mul_f64 v[88:89], v[212:213], s[48:49]
	;; [unrolled: 1-line block ×3, first 2 shown]
	buffer_store_dword v18, off, s[64:67], 0 offset:272 ; 4-byte Folded Spill
	s_nop 0
	buffer_store_dword v19, off, s[64:67], 0 offset:276 ; 4-byte Folded Spill
	buffer_store_dword v88, off, s[64:67], 0 offset:344 ; 4-byte Folded Spill
	s_nop 0
	buffer_store_dword v89, off, s[64:67], 0 offset:348 ; 4-byte Folded Spill
	;; [unrolled: 3-line block ×3, first 2 shown]
	v_add_f64 v[10:11], v[20:21], v[10:11]
	v_fma_f64 v[14:15], v[120:121], s[24:25], v[14:15]
	v_add_f64 v[0:1], v[6:7], v[0:1]
	v_add_f64 v[2:3], v[8:9], v[2:3]
	;; [unrolled: 1-line block ×3, first 2 shown]
	v_fma_f64 v[6:7], v[156:157], s[22:23], v[18:19]
	v_fma_f64 v[8:9], v[158:159], s[22:23], -v[88:89]
	v_fma_f64 v[14:15], v[126:127], s[30:31], v[90:91]
	v_mul_f64 v[88:89], v[224:225], s[50:51]
	v_mul_f64 v[90:91], v[222:223], s[50:51]
	buffer_store_dword v88, off, s[64:67], 0 offset:288 ; 4-byte Folded Spill
	s_nop 0
	buffer_store_dword v89, off, s[64:67], 0 offset:292 ; 4-byte Folded Spill
	v_add_f64 v[10:11], v[14:15], v[10:11]
	v_mul_f64 v[14:15], v[208:209], s[54:55]
	v_add_f64 v[0:1], v[6:7], v[0:1]
	v_add_f64 v[2:3], v[8:9], v[2:3]
	buffer_store_dword v90, off, s[64:67], 0 offset:360 ; 4-byte Folded Spill
	s_nop 0
	buffer_store_dword v91, off, s[64:67], 0 offset:364 ; 4-byte Folded Spill
	v_mul_f64 v[8:9], v[218:219], s[18:19]
	v_mul_f64 v[6:7], v[241:242], s[56:57]
	buffer_store_dword v14, off, s[64:67], 0 offset:408 ; 4-byte Folded Spill
	s_nop 0
	buffer_store_dword v15, off, s[64:67], 0 offset:412 ; 4-byte Folded Spill
	buffer_store_dword v8, off, s[64:67], 0 offset:392 ; 4-byte Folded Spill
	s_nop 0
	buffer_store_dword v9, off, s[64:67], 0 offset:396 ; 4-byte Folded Spill
	;; [unrolled: 3-line block ×3, first 2 shown]
	v_fma_f64 v[18:19], v[142:143], s[22:23], -v[231:232]
	v_add_f64 v[10:11], v[16:17], v[10:11]
	v_add_f64 v[12:13], v[18:19], v[12:13]
	v_fma_f64 v[18:19], v[150:151], s[8:9], -v[237:238]
	v_add_f64 v[12:13], v[18:19], v[12:13]
	v_fma_f64 v[88:89], v[166:167], s[10:11], v[88:89]
	v_fma_f64 v[90:91], v[170:171], s[10:11], -v[90:91]
	v_add_f64 v[0:1], v[88:89], v[0:1]
	v_fma_f64 v[16:17], v[148:149], s[8:9], v[14:15]
	v_mul_f64 v[14:15], v[243:244], s[56:57]
	v_add_f64 v[2:3], v[90:91], v[2:3]
	v_fma_f64 v[18:19], v[156:157], s[4:5], v[8:9]
	v_fma_f64 v[90:91], v[188:189], s[4:5], -v[6:7]
	v_mul_f64 v[6:7], v[241:242], s[42:43]
	buffer_store_dword v6, off, s[64:67], 0 offset:424 ; 4-byte Folded Spill
	s_nop 0
	buffer_store_dword v7, off, s[64:67], 0 offset:428 ; 4-byte Folded Spill
	v_add_f64 v[16:17], v[16:17], v[10:11]
	v_mul_f64 v[10:11], v[224:225], s[36:37]
	v_fma_f64 v[88:89], v[186:187], s[4:5], v[14:15]
	v_add_f64 v[201:202], v[90:91], v[2:3]
	v_mul_f64 v[90:91], v[4:5], s[46:47]
	v_add_f64 v[16:17], v[18:19], v[16:17]
	v_add_f64 v[18:19], v[92:93], v[12:13]
	v_fma_f64 v[92:93], v[166:167], s[16:17], v[10:11]
	v_mul_f64 v[12:13], v[243:244], s[42:43]
	v_add_f64 v[199:200], v[88:89], v[0:1]
	v_fma_f64 v[88:89], v[106:107], s[16:17], v[247:248]
	v_add_f64 v[2:3], v[94:95], v[18:19]
	v_add_f64 v[0:1], v[92:93], v[16:17]
	v_fma_f64 v[16:17], v[186:187], s[26:27], v[12:13]
	v_add_f64 v[203:204], v[16:17], v[0:1]
	v_add_f64 v[0:1], v[20:21], v[88:89]
	v_fma_f64 v[16:17], v[128:129], s[30:31], -v[110:111]
	v_mul_f64 v[88:89], v[178:179], s[54:55]
	v_fma_f64 v[18:19], v[188:189], s[26:27], -v[6:7]
	v_add_f64 v[205:206], v[18:19], v[2:3]
	v_fma_f64 v[2:3], v[120:121], s[30:31], v[249:250]
	v_add_f64 v[0:1], v[2:3], v[0:1]
	v_fma_f64 v[2:3], v[112:113], s[16:17], -v[108:109]
	v_add_f64 v[2:3], v[22:23], v[2:3]
	v_add_f64 v[2:3], v[16:17], v[2:3]
	v_fma_f64 v[16:17], v[126:127], s[22:23], v[102:103]
	v_add_f64 v[0:1], v[16:17], v[0:1]
	v_fma_f64 v[16:17], v[140:141], s[22:23], -v[116:117]
	v_add_f64 v[2:3], v[16:17], v[2:3]
	v_fma_f64 v[16:17], v[138:139], s[4:5], v[100:101]
	v_add_f64 v[0:1], v[16:17], v[0:1]
	v_fma_f64 v[16:17], v[142:143], s[4:5], -v[114:115]
	;; [unrolled: 4-line block ×6, first 2 shown]
	v_fma_f64 v[16:17], v[128:129], s[26:27], -v[176:177]
	v_add_f64 v[216:217], v[0:1], v[2:3]
	v_fma_f64 v[0:1], v[106:107], s[22:23], v[134:135]
	v_fma_f64 v[2:3], v[120:121], s[26:27], v[144:145]
	v_add_f64 v[0:1], v[20:21], v[0:1]
	v_add_f64 v[0:1], v[2:3], v[0:1]
	v_fma_f64 v[2:3], v[112:113], s[22:23], -v[174:175]
	v_add_f64 v[2:3], v[22:23], v[2:3]
	v_add_f64 v[2:3], v[16:17], v[2:3]
	v_fma_f64 v[16:17], v[126:127], s[8:9], v[160:161]
	v_add_f64 v[0:1], v[16:17], v[0:1]
	v_fma_f64 v[16:17], v[140:141], s[8:9], -v[88:89]
	v_add_f64 v[2:3], v[16:17], v[2:3]
	v_fma_f64 v[16:17], v[138:139], s[10:11], v[146:147]
	v_add_f64 v[0:1], v[16:17], v[0:1]
	v_fma_f64 v[16:17], v[142:143], s[10:11], -v[184:185]
	;; [unrolled: 4-line block ×4, first 2 shown]
	v_add_f64 v[2:3], v[16:17], v[2:3]
	v_fma_f64 v[16:17], v[166:167], s[4:5], v[168:169]
	v_add_f64 v[16:17], v[16:17], v[0:1]
	v_mul_f64 v[0:1], v[222:223], s[18:19]
	v_fma_f64 v[18:19], v[170:171], s[4:5], -v[0:1]
	v_add_f64 v[18:19], v[18:19], v[2:3]
	v_fma_f64 v[2:3], v[186:187], s[24:25], v[172:173]
	v_add_f64 v[6:7], v[2:3], v[16:17]
	v_mul_f64 v[2:3], v[241:242], s[40:41]
	v_fma_f64 v[16:17], v[188:189], s[24:25], -v[2:3]
	v_add_f64 v[8:9], v[16:17], v[18:19]
	buffer_store_dword v6, off, s[64:67], 0 ; 4-byte Folded Spill
	s_nop 0
	buffer_store_dword v7, off, s[64:67], 0 offset:4 ; 4-byte Folded Spill
	buffer_store_dword v8, off, s[64:67], 0 offset:8 ; 4-byte Folded Spill
	;; [unrolled: 1-line block ×3, first 2 shown]
	s_waitcnt vmcnt(0)
	s_barrier
	s_and_saveexec_b64 s[34:35], s[0:1]
	s_cbranch_execz .LBB0_7
; %bb.6:
	v_mul_f64 v[16:17], v[112:113], s[30:31]
	v_mul_f64 v[92:93], v[128:129], s[4:5]
	buffer_store_dword v96, off, s[64:67], 0 offset:576 ; 4-byte Folded Spill
	s_nop 0
	buffer_store_dword v97, off, s[64:67], 0 offset:580 ; 4-byte Folded Spill
	buffer_store_dword v98, off, s[64:67], 0 offset:584 ; 4-byte Folded Spill
	s_nop 0
	buffer_store_dword v99, off, s[64:67], 0 offset:588 ; 4-byte Folded Spill
	v_mul_f64 v[98:99], v[154:155], s[56:57]
	buffer_store_dword v195, off, s[64:67], 0 offset:488 ; 4-byte Folded Spill
	s_nop 0
	buffer_store_dword v196, off, s[64:67], 0 offset:492 ; 4-byte Folded Spill
	buffer_store_dword v197, off, s[64:67], 0 offset:496 ; 4-byte Folded Spill
	buffer_store_dword v198, off, s[64:67], 0 offset:500 ; 4-byte Folded Spill
	buffer_store_dword v199, off, s[64:67], 0 offset:16 ; 4-byte Folded Spill
	s_nop 0
	buffer_store_dword v200, off, s[64:67], 0 offset:20 ; 4-byte Folded Spill
	buffer_store_dword v201, off, s[64:67], 0 offset:24 ; 4-byte Folded Spill
	buffer_store_dword v202, off, s[64:67], 0 offset:28 ; 4-byte Folded Spill
	;; [unrolled: 5-line block ×3, first 2 shown]
	v_mov_b32_e32 v216, v194
	v_fma_f64 v[18:19], v[130:131], s[52:53], v[16:17]
	v_fma_f64 v[94:95], v[152:153], s[18:19], v[92:93]
	buffer_store_dword v203, off, s[64:67], 0 offset:504 ; 4-byte Folded Spill
	s_nop 0
	buffer_store_dword v204, off, s[64:67], 0 offset:508 ; 4-byte Folded Spill
	buffer_store_dword v205, off, s[64:67], 0 offset:512 ; 4-byte Folded Spill
	;; [unrolled: 1-line block ×4, first 2 shown]
	s_nop 0
	buffer_store_dword v11, off, s[64:67], 0 offset:596 ; 4-byte Folded Spill
	v_fma_f64 v[198:199], v[120:121], s[4:5], v[98:99]
	buffer_store_dword v12, off, s[64:67], 0 offset:600 ; 4-byte Folded Spill
	s_nop 0
	buffer_store_dword v13, off, s[64:67], 0 offset:604 ; 4-byte Folded Spill
	buffer_store_dword v14, off, s[64:67], 0 offset:568 ; 4-byte Folded Spill
	s_nop 0
	buffer_store_dword v15, off, s[64:67], 0 offset:572 ; 4-byte Folded Spill
	;; [unrolled: 3-line block ×3, first 2 shown]
	v_add_f64 v[18:19], v[22:23], v[18:19]
	v_mov_b32_e32 v214, v228
	buffer_store_dword v226, off, s[64:67], 0 offset:608 ; 4-byte Folded Spill
	s_nop 0
	buffer_store_dword v227, off, s[64:67], 0 offset:612 ; 4-byte Folded Spill
	v_add_f64 v[80:81], v[20:21], v[80:81]
	v_add_f64 v[82:83], v[22:23], v[82:83]
	;; [unrolled: 1-line block ×3, first 2 shown]
	v_mul_f64 v[94:95], v[136:137], s[46:47]
	v_add_f64 v[84:85], v[80:81], v[84:85]
	v_add_f64 v[86:87], v[82:83], v[86:87]
	v_fma_f64 v[96:97], v[106:107], s[30:31], v[94:95]
	v_add_f64 v[96:97], v[20:21], v[96:97]
	v_add_f64 v[96:97], v[198:199], v[96:97]
	v_mul_f64 v[198:199], v[140:141], s[26:27]
	v_fma_f64 v[194:195], v[178:179], s[44:45], v[198:199]
	v_add_f64 v[18:19], v[194:195], v[18:19]
	v_mul_f64 v[194:195], v[180:181], s[42:43]
	v_fma_f64 v[196:197], v[126:127], s[26:27], v[194:195]
	;; [unrolled: 3-line block ×9, first 2 shown]
	v_fma_f64 v[10:11], v[222:223], s[38:39], v[10:11]
	v_add_f64 v[8:9], v[12:13], v[8:9]
	v_mul_f64 v[12:13], v[224:225], s[38:39]
	v_fma_f64 v[14:15], v[166:167], s[22:23], v[12:13]
	v_fma_f64 v[12:13], v[166:167], s[22:23], -v[12:13]
	v_add_f64 v[6:7], v[14:15], v[6:7]
	v_mul_f64 v[14:15], v[188:189], s[16:17]
	v_fma_f64 v[204:205], v[241:242], s[36:37], v[14:15]
	v_add_f64 v[228:229], v[204:205], v[8:9]
	v_mul_f64 v[8:9], v[243:244], s[58:59]
	v_fma_f64 v[204:205], v[186:187], s[16:17], v[8:9]
	v_fma_f64 v[8:9], v[186:187], s[16:17], -v[8:9]
	v_add_f64 v[226:227], v[204:205], v[6:7]
	v_fma_f64 v[6:7], v[130:131], s[46:47], v[16:17]
	v_fma_f64 v[16:17], v[152:153], s[56:57], v[92:93]
	v_fma_f64 v[92:93], v[120:121], s[4:5], -v[98:99]
	buffer_store_dword v226, off, s[64:67], 0 offset:536 ; 4-byte Folded Spill
	s_nop 0
	buffer_store_dword v227, off, s[64:67], 0 offset:540 ; 4-byte Folded Spill
	buffer_store_dword v228, off, s[64:67], 0 offset:544 ; 4-byte Folded Spill
	;; [unrolled: 1-line block ×3, first 2 shown]
	v_add_f64 v[6:7], v[22:23], v[6:7]
	v_mul_f64 v[204:205], v[208:209], s[18:19]
	v_mov_b32_e32 v227, v211
	v_mov_b32_e32 v226, v210
	v_mul_f64 v[210:211], v[224:225], s[54:55]
	v_mov_b32_e32 v228, v214
	v_mul_f64 v[214:215], v[188:189], s[22:23]
	v_add_f64 v[6:7], v[16:17], v[6:7]
	v_fma_f64 v[16:17], v[106:107], s[30:31], -v[94:95]
	v_mul_f64 v[94:95], v[136:137], s[40:41]
	v_add_f64 v[16:17], v[20:21], v[16:17]
	v_add_f64 v[16:17], v[92:93], v[16:17]
	v_fma_f64 v[92:93], v[178:179], s[42:43], v[198:199]
	v_mul_f64 v[198:199], v[154:155], s[50:51]
	v_add_f64 v[6:7], v[92:93], v[6:7]
	v_fma_f64 v[92:93], v[126:127], s[26:27], -v[194:195]
	v_mul_f64 v[194:195], v[170:171], s[8:9]
	v_fma_f64 v[98:99], v[120:121], s[10:11], v[198:199]
	v_add_f64 v[16:17], v[92:93], v[16:17]
	v_fma_f64 v[92:93], v[190:191], s[54:55], v[196:197]
	v_mul_f64 v[196:197], v[136:137], s[42:43]
	v_mul_f64 v[136:137], v[154:155], s[48:49]
	;; [unrolled: 1-line block ×3, first 2 shown]
	v_add_f64 v[6:7], v[92:93], v[6:7]
	v_fma_f64 v[92:93], v[138:139], s[8:9], -v[200:201]
	v_mul_f64 v[200:201], v[180:181], s[36:37]
	v_mul_f64 v[180:181], v[182:183], s[42:43]
	v_add_f64 v[16:17], v[92:93], v[16:17]
	v_fma_f64 v[92:93], v[4:5], s[40:41], v[206:207]
	v_mul_f64 v[206:207], v[218:219], s[46:47]
	v_add_f64 v[6:7], v[92:93], v[6:7]
	v_fma_f64 v[92:93], v[148:149], s[24:25], -v[202:203]
	v_mul_f64 v[202:203], v[182:183], s[60:61]
	v_mul_f64 v[182:183], v[208:209], s[58:59]
	v_add_f64 v[16:17], v[92:93], v[16:17]
	v_fma_f64 v[92:93], v[212:213], s[50:51], v[96:97]
	v_add_f64 v[6:7], v[92:93], v[6:7]
	v_add_f64 v[6:7], v[10:11], v[6:7]
	v_fma_f64 v[10:11], v[156:157], s[10:11], -v[18:19]
	v_add_f64 v[10:11], v[10:11], v[16:17]
	v_add_f64 v[10:11], v[12:13], v[10:11]
	v_fma_f64 v[12:13], v[241:242], s[58:59], v[14:15]
	v_add_f64 v[10:11], v[8:9], v[10:11]
	v_add_f64 v[12:13], v[12:13], v[6:7]
	v_mul_f64 v[6:7], v[112:113], s[26:27]
	buffer_store_dword v10, off, s[64:67], 0 offset:552 ; 4-byte Folded Spill
	s_nop 0
	buffer_store_dword v11, off, s[64:67], 0 offset:556 ; 4-byte Folded Spill
	buffer_store_dword v12, off, s[64:67], 0 offset:560 ; 4-byte Folded Spill
	;; [unrolled: 1-line block ×3, first 2 shown]
	v_fma_f64 v[8:9], v[130:131], s[44:45], v[6:7]
	v_mul_f64 v[10:11], v[128:129], s[10:11]
	v_fma_f64 v[6:7], v[130:131], s[42:43], v[6:7]
	v_add_f64 v[8:9], v[22:23], v[8:9]
	v_fma_f64 v[12:13], v[152:153], s[28:29], v[10:11]
	v_fma_f64 v[10:11], v[152:153], s[50:51], v[10:11]
	v_add_f64 v[6:7], v[22:23], v[6:7]
	v_add_f64 v[8:9], v[12:13], v[8:9]
	v_mul_f64 v[12:13], v[140:141], s[16:17]
	v_add_f64 v[6:7], v[10:11], v[6:7]
	v_fma_f64 v[14:15], v[178:179], s[58:59], v[12:13]
	v_fma_f64 v[10:11], v[178:179], s[36:37], v[12:13]
	v_fma_f64 v[12:13], v[120:121], s[10:11], -v[198:199]
	v_mul_f64 v[198:199], v[243:244], s[50:51]
	v_add_f64 v[8:9], v[14:15], v[8:9]
	v_mul_f64 v[14:15], v[142:143], s[24:25]
	v_add_f64 v[6:7], v[10:11], v[6:7]
	v_fma_f64 v[16:17], v[190:191], s[40:41], v[14:15]
	v_fma_f64 v[10:11], v[190:191], s[60:61], v[14:15]
	v_mul_f64 v[14:15], v[128:129], s[22:23]
	v_add_f64 v[8:9], v[16:17], v[8:9]
	v_mul_f64 v[16:17], v[150:151], s[4:5]
	v_add_f64 v[6:7], v[10:11], v[6:7]
	v_fma_f64 v[18:19], v[4:5], s[56:57], v[16:17]
	v_fma_f64 v[10:11], v[4:5], s[18:19], v[16:17]
	;; [unrolled: 1-line block ×4, first 2 shown]
	v_add_f64 v[8:9], v[18:19], v[8:9]
	v_mul_f64 v[18:19], v[158:159], s[30:31]
	v_add_f64 v[6:7], v[10:11], v[6:7]
	v_fma_f64 v[96:97], v[212:213], s[52:53], v[18:19]
	v_fma_f64 v[10:11], v[212:213], s[46:47], v[18:19]
	v_add_f64 v[8:9], v[96:97], v[8:9]
	v_fma_f64 v[96:97], v[222:223], s[20:21], v[194:195]
	v_add_f64 v[6:7], v[10:11], v[6:7]
	v_fma_f64 v[10:11], v[222:223], s[54:55], v[194:195]
	v_mul_f64 v[194:195], v[218:219], s[20:21]
	v_add_f64 v[8:9], v[96:97], v[8:9]
	v_fma_f64 v[96:97], v[106:107], s[26:27], v[196:197]
	v_add_f64 v[6:7], v[10:11], v[6:7]
	v_fma_f64 v[10:11], v[106:107], s[26:27], -v[196:197]
	v_mul_f64 v[196:197], v[224:225], s[46:47]
	v_add_f64 v[96:97], v[20:21], v[96:97]
	v_add_f64 v[10:11], v[20:21], v[10:11]
	;; [unrolled: 1-line block ×3, first 2 shown]
	v_fma_f64 v[98:99], v[126:127], s[16:17], v[200:201]
	v_add_f64 v[10:11], v[12:13], v[10:11]
	v_fma_f64 v[12:13], v[126:127], s[16:17], -v[200:201]
	v_mul_f64 v[200:201], v[188:189], s[10:11]
	v_add_f64 v[96:97], v[98:99], v[96:97]
	v_fma_f64 v[98:99], v[138:139], s[24:25], v[202:203]
	v_add_f64 v[10:11], v[12:13], v[10:11]
	v_fma_f64 v[12:13], v[138:139], s[24:25], -v[202:203]
	v_add_f64 v[96:97], v[98:99], v[96:97]
	v_fma_f64 v[98:99], v[148:149], s[4:5], v[204:205]
	v_add_f64 v[10:11], v[12:13], v[10:11]
	v_fma_f64 v[12:13], v[148:149], s[4:5], -v[204:205]
	;; [unrolled: 4-line block ×3, first 2 shown]
	buffer_load_dword v203, off, s[64:67], 0 offset:504 ; 4-byte Folded Reload
	buffer_load_dword v204, off, s[64:67], 0 offset:508 ; 4-byte Folded Reload
	;; [unrolled: 1-line block ×4, first 2 shown]
	v_add_f64 v[96:97], v[98:99], v[96:97]
	v_fma_f64 v[98:99], v[166:167], s[8:9], v[210:211]
	v_add_f64 v[10:11], v[12:13], v[10:11]
	v_fma_f64 v[12:13], v[166:167], s[8:9], -v[210:211]
	v_add_f64 v[96:97], v[98:99], v[96:97]
	v_fma_f64 v[98:99], v[241:242], s[48:49], v[214:215]
	v_add_f64 v[10:11], v[12:13], v[10:11]
	v_fma_f64 v[12:13], v[241:242], s[38:39], v[214:215]
	v_add_f64 v[98:99], v[98:99], v[8:9]
	v_mul_f64 v[8:9], v[243:244], s[38:39]
	v_add_f64 v[82:83], v[12:13], v[6:7]
	v_add_f64 v[6:7], v[86:87], v[78:79]
	v_mul_f64 v[86:87], v[158:159], s[8:9]
	v_fma_f64 v[78:79], v[120:121], s[22:23], v[136:137]
	v_fma_f64 v[92:93], v[186:187], s[22:23], v[8:9]
	v_fma_f64 v[8:9], v[186:187], s[22:23], -v[8:9]
	v_add_f64 v[6:7], v[6:7], v[74:75]
	v_add_f64 v[96:97], v[92:93], v[96:97]
	;; [unrolled: 1-line block ×3, first 2 shown]
	v_mul_f64 v[10:11], v[112:113], s[24:25]
	v_add_f64 v[8:9], v[84:85], v[76:77]
	v_mul_f64 v[84:85], v[150:151], s[16:17]
	v_mul_f64 v[92:93], v[170:171], s[30:31]
	v_fma_f64 v[12:13], v[130:131], s[60:61], v[10:11]
	v_fma_f64 v[10:11], v[130:131], s[40:41], v[10:11]
	v_add_f64 v[8:9], v[8:9], v[72:73]
	v_add_f64 v[12:13], v[22:23], v[12:13]
	;; [unrolled: 1-line block ×4, first 2 shown]
	v_mul_f64 v[16:17], v[140:141], s[4:5]
	v_add_f64 v[10:11], v[14:15], v[10:11]
	v_fma_f64 v[18:19], v[178:179], s[56:57], v[16:17]
	v_add_f64 v[12:13], v[18:19], v[12:13]
	v_mul_f64 v[18:19], v[142:143], s[26:27]
	v_fma_f64 v[76:77], v[190:191], s[44:45], v[18:19]
	v_fma_f64 v[14:15], v[190:191], s[42:43], v[18:19]
	v_add_f64 v[12:13], v[76:77], v[12:13]
	v_fma_f64 v[76:77], v[4:5], s[36:37], v[84:85]
	v_fma_f64 v[4:5], v[4:5], s[58:59], v[84:85]
	v_mul_f64 v[84:85], v[128:129], s[24:25]
	v_add_f64 v[12:13], v[76:77], v[12:13]
	v_fma_f64 v[76:77], v[212:213], s[54:55], v[86:87]
	v_add_f64 v[12:13], v[76:77], v[12:13]
	v_fma_f64 v[76:77], v[222:223], s[52:53], v[92:93]
	;; [unrolled: 2-line block ×3, first 2 shown]
	v_add_f64 v[76:77], v[20:21], v[76:77]
	v_add_f64 v[76:77], v[78:79], v[76:77]
	v_fma_f64 v[78:79], v[126:127], s[4:5], v[154:155]
	v_add_f64 v[76:77], v[78:79], v[76:77]
	v_fma_f64 v[78:79], v[138:139], s[26:27], v[180:181]
	;; [unrolled: 2-line block ×9, first 2 shown]
	v_mul_f64 v[86:87], v[166:167], s[24:25]
	v_add_f64 v[10:11], v[14:15], v[10:11]
	v_fma_f64 v[14:15], v[120:121], s[22:23], -v[136:137]
	v_mul_f64 v[136:137], v[150:151], s[26:27]
	v_add_f64 v[4:5], v[4:5], v[10:11]
	v_fma_f64 v[10:11], v[222:223], s[46:47], v[92:93]
	v_mul_f64 v[92:93], v[112:113], s[4:5]
	v_add_f64 v[4:5], v[12:13], v[4:5]
	v_fma_f64 v[12:13], v[241:242], s[50:51], v[200:201]
	v_add_f64 v[4:5], v[10:11], v[4:5]
	v_fma_f64 v[10:11], v[106:107], s[24:25], -v[94:95]
	v_mul_f64 v[94:95], v[112:113], s[8:9]
	v_add_f64 v[74:75], v[12:13], v[4:5]
	v_add_f64 v[10:11], v[20:21], v[10:11]
	v_mul_f64 v[12:13], v[128:129], s[26:27]
	v_add_f64 v[4:5], v[6:7], v[70:71]
	v_add_f64 v[6:7], v[8:9], v[68:69]
	v_mul_f64 v[8:9], v[140:141], s[8:9]
	v_mul_f64 v[68:69], v[120:121], s[30:31]
	;; [unrolled: 1-line block ×3, first 2 shown]
	v_add_f64 v[10:11], v[14:15], v[10:11]
	v_fma_f64 v[14:15], v[126:127], s[4:5], -v[154:155]
	v_add_f64 v[12:13], v[176:177], v[12:13]
	v_add_f64 v[6:7], v[6:7], v[24:25]
	;; [unrolled: 1-line block ×3, first 2 shown]
	v_add_f64 v[68:69], v[68:69], -v[249:250]
	v_add_f64 v[70:71], v[220:221], v[70:71]
	v_add_f64 v[4:5], v[4:5], v[26:27]
	v_mul_f64 v[154:155], v[188:189], s[30:31]
	v_add_f64 v[10:11], v[14:15], v[10:11]
	v_fma_f64 v[14:15], v[138:139], s[26:27], -v[180:181]
	v_add_f64 v[6:7], v[6:7], v[28:29]
	v_add_f64 v[70:71], v[22:23], v[70:71]
	v_add_f64 v[4:5], v[4:5], v[30:31]
	v_add_f64 v[10:11], v[14:15], v[10:11]
	v_fma_f64 v[14:15], v[148:149], s[16:17], -v[182:183]
	v_add_f64 v[6:7], v[6:7], v[32:33]
	v_add_f64 v[4:5], v[4:5], v[34:35]
	;; [unrolled: 1-line block ×3, first 2 shown]
	v_fma_f64 v[14:15], v[156:157], s[8:9], -v[194:195]
	v_mov_b32_e32 v194, v216
	buffer_load_dword v214, off, s[64:67], 0 offset:520 ; 4-byte Folded Reload
	buffer_load_dword v215, off, s[64:67], 0 offset:524 ; 4-byte Folded Reload
	;; [unrolled: 1-line block ×4, first 2 shown]
	v_add_f64 v[6:7], v[6:7], v[36:37]
	v_add_f64 v[4:5], v[4:5], v[38:39]
	;; [unrolled: 1-line block ×3, first 2 shown]
	v_fma_f64 v[14:15], v[166:167], s[30:31], -v[196:197]
	v_add_f64 v[6:7], v[6:7], v[40:41]
	v_add_f64 v[4:5], v[4:5], v[42:43]
	;; [unrolled: 1-line block ×3, first 2 shown]
	v_fma_f64 v[14:15], v[186:187], s[10:11], -v[198:199]
	buffer_load_dword v199, off, s[64:67], 0 offset:16 ; 4-byte Folded Reload
	buffer_load_dword v200, off, s[64:67], 0 offset:20 ; 4-byte Folded Reload
	;; [unrolled: 1-line block ×10, first 2 shown]
	v_add_f64 v[4:5], v[4:5], v[46:47]
	v_add_f64 v[6:7], v[6:7], v[44:45]
	;; [unrolled: 1-line block ×3, first 2 shown]
	v_mul_f64 v[10:11], v[112:113], s[22:23]
	v_mul_f64 v[14:15], v[106:107], s[16:17]
	v_add_f64 v[4:5], v[4:5], v[50:51]
	v_add_f64 v[6:7], v[6:7], v[48:49]
	;; [unrolled: 1-line block ×3, first 2 shown]
	v_add_f64 v[14:15], v[14:15], -v[247:248]
	v_add_f64 v[4:5], v[4:5], v[54:55]
	v_add_f64 v[6:7], v[6:7], v[52:53]
	;; [unrolled: 1-line block ×7, first 2 shown]
	v_mul_f64 v[12:13], v[142:143], s[10:11]
	v_add_f64 v[14:15], v[68:69], v[14:15]
	v_mul_f64 v[68:69], v[138:139], s[4:5]
	v_add_f64 v[4:5], v[4:5], v[62:63]
	v_add_f64 v[42:43], v[6:7], v[60:61]
	;; [unrolled: 1-line block ×4, first 2 shown]
	v_mul_f64 v[10:11], v[150:151], s[30:31]
	v_add_f64 v[68:69], v[68:69], -v[100:101]
	v_mul_f64 v[100:101], v[150:151], s[8:9]
	v_add_f64 v[8:9], v[12:13], v[8:9]
	v_add_f64 v[10:11], v[90:91], v[10:11]
	v_mul_f64 v[12:13], v[158:159], s[16:17]
	v_mul_f64 v[90:91], v[106:107], s[4:5]
	v_add_f64 v[8:9], v[10:11], v[8:9]
	v_mul_f64 v[10:11], v[170:171], s[4:5]
	v_add_f64 v[12:13], v[192:193], v[12:13]
	v_add_f64 v[0:1], v[0:1], v[10:11]
	v_mul_f64 v[10:11], v[188:189], s[24:25]
	v_add_f64 v[8:9], v[12:13], v[8:9]
	v_mul_f64 v[12:13], v[120:121], s[26:27]
	;; [unrolled: 2-line block ×4, first 2 shown]
	v_add_f64 v[12:13], v[12:13], -v[144:145]
	s_waitcnt vmcnt(0)
	v_add_f64 v[84:85], v[88:89], v[84:85]
	v_mul_f64 v[88:89], v[140:141], s[30:31]
	v_mul_f64 v[144:145], v[156:157], s[4:5]
	v_add_f64 v[10:11], v[10:11], -v[134:135]
	v_add_f64 v[2:3], v[2:3], v[0:1]
	v_add_f64 v[8:9], v[8:9], -v[160:161]
	v_mul_f64 v[160:161], v[188:189], s[26:27]
	v_add_f64 v[70:71], v[84:85], v[70:71]
	v_add_f64 v[88:89], v[235:236], v[88:89]
	v_mul_f64 v[84:85], v[186:187], s[8:9]
	v_add_f64 v[10:11], v[20:21], v[10:11]
	v_add_f64 v[70:71], v[88:89], v[70:71]
	v_mul_f64 v[88:89], v[170:171], s[16:17]
	v_add_f64 v[84:85], v[84:85], -v[245:246]
	v_add_f64 v[10:11], v[12:13], v[10:11]
	v_mul_f64 v[12:13], v[138:139], s[10:11]
	v_add_f64 v[88:89], v[239:240], v[88:89]
	v_add_f64 v[8:9], v[8:9], v[10:11]
	v_add_f64 v[12:13], v[12:13], -v[146:147]
	v_mul_f64 v[10:11], v[148:149], s[30:31]
	v_add_f64 v[8:9], v[12:13], v[8:9]
	v_add_f64 v[10:11], v[10:11], -v[162:163]
	v_mul_f64 v[12:13], v[156:157], s[16:17]
	v_add_f64 v[8:9], v[10:11], v[8:9]
	v_add_f64 v[12:13], v[12:13], -v[164:165]
	v_mul_f64 v[10:11], v[166:167], s[4:5]
	v_add_f64 v[8:9], v[12:13], v[8:9]
	v_add_f64 v[10:11], v[10:11], -v[168:169]
	v_mul_f64 v[12:13], v[186:187], s[24:25]
	v_add_f64 v[18:19], v[10:11], v[8:9]
	v_mul_f64 v[10:11], v[112:113], s[16:17]
	v_add_f64 v[16:17], v[12:13], -v[172:173]
	v_mul_f64 v[12:13], v[128:129], s[30:31]
	v_mul_f64 v[8:9], v[140:141], s[22:23]
	v_mul_f64 v[112:113], v[120:121], s[24:25]
	v_add_f64 v[10:11], v[108:109], v[10:11]
	v_mul_f64 v[108:109], v[120:121], s[16:17]
	v_add_f64 v[12:13], v[110:111], v[12:13]
	v_add_f64 v[8:9], v[116:117], v[8:9]
	v_mul_f64 v[116:117], v[140:141], s[10:11]
	v_mul_f64 v[110:111], v[128:129], s[16:17]
	v_add_f64 v[10:11], v[22:23], v[10:11]
	v_add_f64 v[10:11], v[12:13], v[10:11]
	v_mul_f64 v[12:13], v[142:143], s[4:5]
	v_add_f64 v[8:9], v[8:9], v[10:11]
	v_add_f64 v[12:13], v[114:115], v[12:13]
	v_mul_f64 v[10:11], v[150:151], s[10:11]
	v_mul_f64 v[114:115], v[126:127], s[10:11]
	v_add_f64 v[8:9], v[12:13], v[8:9]
	v_add_f64 v[10:11], v[118:119], v[10:11]
	v_mul_f64 v[12:13], v[158:159], s[26:27]
	;; [unrolled: 4-line block ×3, first 2 shown]
	v_add_f64 v[8:9], v[12:13], v[8:9]
	v_add_f64 v[10:11], v[124:125], v[10:11]
	v_mul_f64 v[12:13], v[188:189], s[8:9]
	v_add_f64 v[8:9], v[10:11], v[8:9]
	v_mul_f64 v[10:11], v[126:127], s[22:23]
	v_add_f64 v[12:13], v[132:133], v[12:13]
	v_add_f64 v[10:11], v[10:11], -v[102:103]
	v_mul_f64 v[102:103], v[106:107], s[10:11]
	v_add_f64 v[10:11], v[10:11], v[14:15]
	v_mul_f64 v[14:15], v[148:149], s[10:11]
	v_add_f64 v[10:11], v[68:69], v[10:11]
	v_add_f64 v[14:15], v[14:15], -v[104:105]
	v_mul_f64 v[68:69], v[156:157], s[26:27]
	v_mul_f64 v[104:105], v[120:121], s[8:9]
	;; [unrolled: 1-line block ×3, first 2 shown]
	v_add_f64 v[10:11], v[14:15], v[10:11]
	v_add_f64 v[68:69], v[68:69], -v[253:254]
	v_add_f64 v[14:15], v[86:87], -v[251:252]
	v_mul_f64 v[86:87], v[142:143], s[22:23]
	v_add_f64 v[10:11], v[68:69], v[10:11]
	v_mul_f64 v[68:69], v[106:107], s[8:9]
	v_add_f64 v[86:87], v[231:232], v[86:87]
	v_add_f64 v[106:107], v[14:15], v[10:11]
	;; [unrolled: 1-line block ×4, first 2 shown]
	v_mul_f64 v[86:87], v[138:139], s[22:23]
	v_mul_f64 v[100:101], v[128:129], s[8:9]
	;; [unrolled: 1-line block ×4, first 2 shown]
	v_add_f64 v[70:71], v[14:15], v[70:71]
	buffer_load_dword v14, off, s[64:67], 0 offset:608 ; 4-byte Folded Reload
	buffer_load_dword v15, off, s[64:67], 0 offset:612 ; 4-byte Folded Reload
	;; [unrolled: 1-line block ×18, first 2 shown]
	v_add_f64 v[10:11], v[233:234], v[10:11]
	v_add_f64 v[0:1], v[10:11], v[70:71]
	v_add_f64 v[0:1], v[88:89], v[0:1]
	s_waitcnt vmcnt(16)
	v_add_f64 v[14:15], v[86:87], -v[14:15]
	s_waitcnt vmcnt(14)
	v_add_f64 v[102:103], v[102:103], -v[122:123]
	s_waitcnt vmcnt(12)
	v_add_f64 v[94:95], v[124:125], v[94:95]
	s_waitcnt vmcnt(10)
	v_add_f64 v[112:113], v[112:113], -v[130:131]
	s_waitcnt vmcnt(8)
	v_add_f64 v[120:121], v[120:121], -v[132:133]
	s_waitcnt vmcnt(6)
	v_add_f64 v[110:111], v[134:135], v[110:111]
	s_waitcnt vmcnt(4)
	v_add_f64 v[118:119], v[140:141], v[118:119]
	;; [unrolled: 2-line block ×3, first 2 shown]
	v_mul_f64 v[124:125], v[142:143], s[16:17]
	v_add_f64 v[102:103], v[20:21], v[102:103]
	v_add_f64 v[94:95], v[22:23], v[94:95]
	v_mul_f64 v[142:143], v[158:159], s[22:23]
	v_mul_f64 v[86:87], v[126:127], s[24:25]
	;; [unrolled: 1-line block ×6, first 2 shown]
	v_add_f64 v[102:103], v[112:113], v[102:103]
	v_add_f64 v[94:95], v[110:111], v[94:95]
	v_mul_f64 v[158:159], v[186:187], s[26:27]
	v_mul_f64 v[130:131], v[148:149], s[22:23]
	;; [unrolled: 1-line block ×4, first 2 shown]
	s_waitcnt vmcnt(0)
	v_add_f64 v[138:139], v[138:139], -v[152:153]
	v_mul_f64 v[132:133], v[150:151], s[22:23]
	v_add_f64 v[102:103], v[120:121], v[102:103]
	v_add_f64 v[94:95], v[118:119], v[94:95]
	v_mul_f64 v[112:113], v[156:157], s[24:25]
	v_mul_f64 v[110:111], v[156:157], s[22:23]
	;; [unrolled: 1-line block ×6, first 2 shown]
	v_add_f64 v[102:103], v[14:15], v[102:103]
	buffer_load_dword v14, off, s[64:67], 0 offset:296 ; 4-byte Folded Reload
	buffer_load_dword v15, off, s[64:67], 0 offset:300 ; 4-byte Folded Reload
	v_add_f64 v[94:95], v[128:129], v[94:95]
	v_mul_f64 v[128:129], v[188:189], s[4:5]
	v_mul_f64 v[152:153], v[186:187], s[30:31]
	;; [unrolled: 1-line block ×3, first 2 shown]
	v_add_f64 v[26:27], v[138:139], v[102:103]
	s_waitcnt vmcnt(0)
	v_add_f64 v[136:137], v[14:15], v[136:137]
	v_add_f64 v[14:15], v[12:13], v[8:9]
	buffer_load_dword v8, off, s[64:67], 0 offset:344 ; 4-byte Folded Reload
	buffer_load_dword v9, off, s[64:67], 0 offset:348 ; 4-byte Folded Reload
	;; [unrolled: 1-line block ×8, first 2 shown]
	v_add_f64 v[10:11], v[136:137], v[94:95]
	s_waitcnt vmcnt(6)
	v_add_f64 v[8:9], v[8:9], v[142:143]
	s_waitcnt vmcnt(4)
	;; [unrolled: 2-line block ×3, first 2 shown]
	v_add_f64 v[24:25], v[144:145], -v[24:25]
	s_waitcnt vmcnt(0)
	v_add_f64 v[70:71], v[70:71], v[148:149]
	v_add_f64 v[8:9], v[8:9], v[10:11]
	buffer_load_dword v10, off, s[64:67], 0 offset:600 ; 4-byte Folded Reload
	buffer_load_dword v11, off, s[64:67], 0 offset:604 ; 4-byte Folded Reload
	v_add_f64 v[24:25], v[24:25], v[26:27]
	v_add_f64 v[6:7], v[12:13], v[0:1]
	;; [unrolled: 1-line block ×4, first 2 shown]
	v_mul_lo_u16_e32 v16, 17, v228
	v_lshlrev_b32_e32 v16, 4, v16
	v_add_f64 v[8:9], v[70:71], v[8:9]
	s_waitcnt vmcnt(0)
	v_add_f64 v[28:29], v[158:159], -v[10:11]
	buffer_load_dword v10, off, s[64:67], 0 offset:592 ; 4-byte Folded Reload
	buffer_load_dword v11, off, s[64:67], 0 offset:596 ; 4-byte Folded Reload
	;; [unrolled: 1-line block ×10, first 2 shown]
	s_waitcnt vmcnt(8)
	v_add_f64 v[10:11], v[150:151], -v[10:11]
	s_waitcnt vmcnt(6)
	v_add_f64 v[26:27], v[26:27], v[128:129]
	s_waitcnt vmcnt(4)
	v_add_f64 v[30:31], v[30:31], v[92:93]
	s_waitcnt vmcnt(2)
	v_add_f64 v[32:33], v[90:91], -v[32:33]
	s_waitcnt vmcnt(0)
	v_add_f64 v[34:35], v[68:69], -v[34:35]
	buffer_load_dword v68, off, s[64:67], 0 offset:224 ; 4-byte Folded Reload
	buffer_load_dword v69, off, s[64:67], 0 offset:228 ; 4-byte Folded Reload
	;; [unrolled: 1-line block ×4, first 2 shown]
	v_add_f64 v[22:23], v[22:23], v[30:31]
	v_add_f64 v[30:31], v[104:105], -v[226:227]
	v_add_f64 v[32:33], v[20:21], v[32:33]
	v_add_f64 v[20:21], v[20:21], v[34:35]
	buffer_load_dword v34, off, s[64:67], 0 offset:240 ; 4-byte Folded Reload
	buffer_load_dword v35, off, s[64:67], 0 offset:244 ; 4-byte Folded Reload
	;; [unrolled: 1-line block ×6, first 2 shown]
	v_add_f64 v[30:31], v[30:31], v[32:33]
	buffer_load_dword v32, off, s[64:67], 0 offset:248 ; 4-byte Folded Reload
	buffer_load_dword v33, off, s[64:67], 0 offset:252 ; 4-byte Folded Reload
	;; [unrolled: 1-line block ×4, first 2 shown]
	s_waitcnt vmcnt(12)
	v_add_f64 v[68:69], v[108:109], -v[68:69]
	s_waitcnt vmcnt(10)
	v_add_f64 v[70:71], v[70:71], v[100:101]
	v_add_f64 v[20:21], v[68:69], v[20:21]
	;; [unrolled: 1-line block ×3, first 2 shown]
	s_waitcnt vmcnt(6)
	v_add_f64 v[36:37], v[36:37], v[116:117]
	v_add_f64 v[34:35], v[86:87], -v[34:35]
	s_waitcnt vmcnt(4)
	v_add_f64 v[38:39], v[114:115], -v[38:39]
	s_waitcnt vmcnt(2)
	;; [unrolled: 2-line block ×3, first 2 shown]
	v_add_f64 v[40:41], v[40:41], v[124:125]
	v_add_f64 v[22:23], v[36:37], v[22:23]
	buffer_load_dword v36, off, s[64:67], 0 offset:64 ; 4-byte Folded Reload
	buffer_load_dword v37, off, s[64:67], 0 offset:68 ; 4-byte Folded Reload
	v_add_f64 v[30:31], v[38:39], v[30:31]
	v_add_f64 v[20:21], v[34:35], v[20:21]
	buffer_load_dword v34, off, s[64:67], 0 offset:264 ; 4-byte Folded Reload
	buffer_load_dword v35, off, s[64:67], 0 offset:268 ; 4-byte Folded Reload
	;; [unrolled: 1-line block ×4, first 2 shown]
	v_add_f64 v[22:23], v[40:41], v[22:23]
	buffer_load_dword v40, off, s[64:67], 0 offset:112 ; 4-byte Folded Reload
	buffer_load_dword v41, off, s[64:67], 0 offset:116 ; 4-byte Folded Reload
	v_add_f64 v[20:21], v[32:33], v[20:21]
	buffer_load_dword v32, off, s[64:67], 0 offset:272 ; 4-byte Folded Reload
	buffer_load_dword v33, off, s[64:67], 0 offset:276 ; 4-byte Folded Reload
	s_waitcnt vmcnt(8)
	v_add_f64 v[36:37], v[122:123], -v[36:37]
	s_waitcnt vmcnt(6)
	v_add_f64 v[34:35], v[134:135], -v[34:35]
	s_waitcnt vmcnt(4)
	v_add_f64 v[38:39], v[38:39], v[132:133]
	s_waitcnt vmcnt(2)
	v_add_f64 v[40:41], v[130:131], -v[40:41]
	v_add_f64 v[30:31], v[36:37], v[30:31]
	buffer_load_dword v36, off, s[64:67], 0 offset:160 ; 4-byte Folded Reload
	buffer_load_dword v37, off, s[64:67], 0 offset:164 ; 4-byte Folded Reload
	v_add_f64 v[20:21], v[34:35], v[20:21]
	v_add_f64 v[22:23], v[38:39], v[22:23]
	buffer_load_dword v38, off, s[64:67], 0 offset:144 ; 4-byte Folded Reload
	buffer_load_dword v39, off, s[64:67], 0 offset:148 ; 4-byte Folded Reload
	;; [unrolled: 1-line block ×4, first 2 shown]
	s_waitcnt vmcnt(6)
	v_add_f64 v[32:33], v[110:111], -v[32:33]
	v_add_f64 v[30:31], v[40:41], v[30:31]
	buffer_load_dword v40, off, s[64:67], 0 offset:176 ; 4-byte Folded Reload
	buffer_load_dword v41, off, s[64:67], 0 offset:180 ; 4-byte Folded Reload
	v_add_f64 v[20:21], v[32:33], v[20:21]
	s_waitcnt vmcnt(6)
	v_add_f64 v[36:37], v[36:37], v[140:141]
	s_waitcnt vmcnt(4)
	v_add_f64 v[38:39], v[112:113], -v[38:39]
	s_waitcnt vmcnt(2)
	v_add_f64 v[34:35], v[118:119], -v[34:35]
	s_waitcnt vmcnt(0)
	v_add_f64 v[40:41], v[40:41], v[146:147]
	v_add_f64 v[22:23], v[36:37], v[22:23]
	buffer_load_dword v36, off, s[64:67], 0 offset:168 ; 4-byte Folded Reload
	buffer_load_dword v37, off, s[64:67], 0 offset:172 ; 4-byte Folded Reload
	v_add_f64 v[30:31], v[38:39], v[30:31]
	buffer_load_dword v32, off, s[64:67], 0 offset:568 ; 4-byte Folded Reload
	buffer_load_dword v33, off, s[64:67], 0 offset:572 ; 4-byte Folded Reload
	;; [unrolled: 1-line block ×4, first 2 shown]
	v_add_f64 v[34:35], v[34:35], v[20:21]
	v_add_f64 v[22:23], v[40:41], v[22:23]
	buffer_load_dword v40, off, s[64:67], 0 offset:184 ; 4-byte Folded Reload
	buffer_load_dword v41, off, s[64:67], 0 offset:188 ; 4-byte Folded Reload
	s_waitcnt vmcnt(6)
	v_add_f64 v[36:37], v[120:121], -v[36:37]
	s_waitcnt vmcnt(4)
	v_add_f64 v[32:33], v[156:157], -v[32:33]
	s_waitcnt vmcnt(2)
	v_add_f64 v[38:39], v[38:39], v[154:155]
	s_waitcnt vmcnt(0)
	v_add_f64 v[40:41], v[152:153], -v[40:41]
	v_add_f64 v[30:31], v[36:37], v[30:31]
	v_add_f64 v[36:37], v[10:11], v[24:25]
	;; [unrolled: 1-line block ×9, first 2 shown]
	ds_write_b128 v16, v[24:27]
	ds_write_b128 v16, v[20:23] offset:16
	ds_write_b128 v16, v[8:11] offset:32
	;; [unrolled: 1-line block ×7, first 2 shown]
	buffer_load_dword v0, off, s[64:67], 0 offset:552 ; 4-byte Folded Reload
	buffer_load_dword v1, off, s[64:67], 0 offset:556 ; 4-byte Folded Reload
	;; [unrolled: 1-line block ×4, first 2 shown]
	s_waitcnt vmcnt(0)
	ds_write_b128 v16, v[0:3] offset:128
	buffer_load_dword v0, off, s[64:67], 0 offset:536 ; 4-byte Folded Reload
	buffer_load_dword v1, off, s[64:67], 0 offset:540 ; 4-byte Folded Reload
	;; [unrolled: 1-line block ×4, first 2 shown]
	s_waitcnt vmcnt(0)
	ds_write_b128 v16, v[0:3] offset:144
	ds_write_b128 v16, v[96:99] offset:160
	;; [unrolled: 1-line block ×3, first 2 shown]
	buffer_load_dword v0, off, s[64:67], 0  ; 4-byte Folded Reload
	buffer_load_dword v1, off, s[64:67], 0 offset:4 ; 4-byte Folded Reload
	buffer_load_dword v2, off, s[64:67], 0 offset:8 ; 4-byte Folded Reload
	;; [unrolled: 1-line block ×3, first 2 shown]
	s_waitcnt vmcnt(0)
	ds_write_b128 v16, v[0:3] offset:192
	ds_write_b128 v16, v[214:217] offset:208
	;; [unrolled: 1-line block ×5, first 2 shown]
.LBB0_7:
	s_or_b64 exec, exec, s[34:35]
	s_movk_i32 s8, 0xf1
	v_add_u32_e32 v0, 0x132, v228
	v_mul_lo_u16_sdwa v3, v228, s8 dst_sel:DWORD dst_unused:UNUSED_PAD src0_sel:BYTE_0 src1_sel:DWORD
	s_mov_b32 s8, 0xf0f1
	v_mul_u32_u24_sdwa v4, v0, s8 dst_sel:DWORD dst_unused:UNUSED_PAD src0_sel:WORD_0 src1_sel:DWORD
	v_lshrrev_b16_e32 v13, 12, v3
	v_lshrrev_b32_e32 v25, 20, v4
	v_mul_lo_u16_e32 v3, 17, v13
	v_mul_lo_u16_e32 v4, 17, v25
	v_sub_u16_e32 v3, v228, v3
	v_sub_u16_e32 v26, v0, v4
	s_movk_i32 s16, 0x99
	v_and_b32_e32 v23, 0xff, v3
	v_lshlrev_b16_e32 v4, 1, v26
	v_add_co_u32_e32 v2, vcc, s16, v228
	v_add_u32_e32 v1, 0x1cb, v228
	v_lshlrev_b32_e32 v3, 5, v23
	v_lshlrev_b32_e32 v4, 4, v4
	s_load_dwordx4 s[4:7], s[6:7], 0x0
	s_waitcnt lgkmcnt(0)
	s_barrier
	global_load_dwordx4 v[34:37], v3, s[2:3] offset:16
	global_load_dwordx4 v[38:41], v3, s[2:3]
	v_mul_u32_u24_sdwa v3, v2, s8 dst_sel:DWORD dst_unused:UNUSED_PAD src0_sel:WORD_0 src1_sel:DWORD
	global_load_dwordx4 v[44:47], v4, s[2:3] offset:16
	global_load_dwordx4 v[48:51], v4, s[2:3]
	v_mul_u32_u24_sdwa v4, v1, s8 dst_sel:DWORD dst_unused:UNUSED_PAD src0_sel:WORD_0 src1_sel:DWORD
	v_lshrrev_b32_e32 v24, 20, v3
	v_lshrrev_b32_e32 v27, 20, v4
	v_mul_lo_u16_e32 v3, 17, v24
	v_mul_lo_u16_e32 v4, 17, v27
	v_sub_u16_e32 v28, v1, v4
	v_sub_u16_e32 v29, v2, v3
	v_lshlrev_b16_e32 v4, 1, v28
	v_lshlrev_b16_e32 v3, 1, v29
	v_lshlrev_b32_e32 v4, 4, v4
	v_lshlrev_b32_e32 v3, 4, v3
	global_load_dwordx4 v[207:210], v4, s[2:3] offset:16
	global_load_dwordx4 v[218:221], v4, s[2:3]
	global_load_dwordx4 v[229:232], v3, s[2:3]
	global_load_dwordx4 v[222:225], v3, s[2:3] offset:16
	v_mov_b32_e32 v3, 4
	v_lshlrev_b32_sdwa v14, v3, v228 dst_sel:DWORD dst_unused:UNUSED_PAD src0_sel:DWORD src1_sel:WORD_0
	ds_read_b128 v[3:6], v14
	ds_read_b128 v[7:10], v14 offset:2448
	ds_read_b128 v[52:55], v14 offset:9792
	;; [unrolled: 1-line block ×11, first 2 shown]
	s_mov_b32 s8, 0xe8584caa
	s_mov_b32 s9, 0x3febb67a
	;; [unrolled: 1-line block ×4, first 2 shown]
	s_waitcnt vmcnt(0) lgkmcnt(0)
	s_barrier
	s_movk_i32 s17, 0xa1
	v_add_u32_e32 v31, 0x264, v228
	v_add_u32_e32 v32, 0x2fd, v228
	v_mul_f64 v[19:20], v[60:61], v[36:37]
	v_mul_f64 v[15:16], v[52:53], v[40:41]
	;; [unrolled: 1-line block ×8, first 2 shown]
	v_fma_f64 v[19:20], v[62:63], v[34:35], v[19:20]
	v_fma_f64 v[15:16], v[54:55], v[38:39], v[15:16]
	v_fma_f64 v[11:12], v[52:53], v[38:39], -v[11:12]
	v_fma_f64 v[17:18], v[60:61], v[34:35], -v[17:18]
	;; [unrolled: 1-line block ×4, first 2 shown]
	v_mul_f64 v[102:103], v[90:91], v[209:210]
	v_mul_f64 v[106:107], v[58:59], v[231:232]
	;; [unrolled: 1-line block ×8, first 2 shown]
	v_fma_f64 v[78:79], v[78:79], v[48:49], v[92:93]
	v_fma_f64 v[52:53], v[56:57], v[229:230], -v[106:107]
	v_fma_f64 v[56:57], v[64:65], v[222:223], -v[110:111]
	v_fma_f64 v[54:55], v[58:59], v[229:230], v[108:109]
	v_fma_f64 v[62:63], v[66:67], v[222:223], v[112:113]
	v_add_f64 v[64:65], v[15:16], -v[19:20]
	v_add_f64 v[66:67], v[5:6], v[15:16]
	v_add_f64 v[15:16], v[15:16], v[19:20]
	v_fma_f64 v[92:93], v[80:81], v[218:219], -v[98:99]
	v_add_f64 v[58:59], v[3:4], v[11:12]
	v_add_f64 v[60:61], v[11:12], v[17:18]
	;; [unrolled: 1-line block ×3, first 2 shown]
	v_fma_f64 v[86:87], v[86:87], v[44:45], v[96:97]
	v_fma_f64 v[82:83], v[82:83], v[218:219], v[100:101]
	v_fma_f64 v[88:89], v[88:89], v[207:208], -v[102:103]
	v_add_f64 v[11:12], v[11:12], -v[17:18]
	v_add_f64 v[100:101], v[54:55], -v[62:63]
	v_add_f64 v[102:103], v[9:10], v[54:55]
	v_add_f64 v[54:55], v[54:55], v[62:63]
	v_fma_f64 v[15:16], v[15:16], -0.5, v[5:6]
	v_add_f64 v[80:81], v[21:22], v[84:85]
	v_fma_f64 v[90:91], v[90:91], v[207:208], v[104:105]
	v_add_f64 v[96:97], v[7:8], v[52:53]
	v_fma_f64 v[60:61], v[60:61], -0.5, v[3:4]
	v_add_f64 v[3:4], v[58:59], v[17:18]
	v_fma_f64 v[17:18], v[98:99], -0.5, v[7:8]
	;; [unrolled: 2-line block ×3, first 2 shown]
	v_fma_f64 v[54:55], v[11:12], s[10:11], v[15:16]
	v_fma_f64 v[58:59], v[11:12], s[8:9], v[15:16]
	v_add_f64 v[11:12], v[78:79], v[86:87]
	v_add_f64 v[76:77], v[68:69], v[21:22]
	v_add_f64 v[94:95], v[78:79], -v[86:87]
	v_fma_f64 v[19:20], v[80:81], -0.5, v[68:69]
	v_add_f64 v[104:105], v[52:53], -v[56:57]
	v_add_f64 v[7:8], v[96:97], v[56:57]
	v_fma_f64 v[52:53], v[64:65], s[8:9], v[60:61]
	v_fma_f64 v[56:57], v[64:65], s[10:11], v[60:61]
	;; [unrolled: 1-line block ×4, first 2 shown]
	v_add_f64 v[15:16], v[92:93], v[88:89]
	v_add_f64 v[17:18], v[82:83], v[90:91]
	v_fma_f64 v[11:12], v[11:12], -0.5, v[70:71]
	v_add_f64 v[21:22], v[21:22], -v[84:85]
	v_add_f64 v[68:69], v[76:77], v[84:85]
	v_fma_f64 v[76:77], v[94:95], s[8:9], v[19:20]
	v_fma_f64 v[80:81], v[94:95], s[10:11], v[19:20]
	v_add_f64 v[19:20], v[70:71], v[78:79]
	v_add_f64 v[84:85], v[72:73], v[92:93]
	;; [unrolled: 1-line block ×4, first 2 shown]
	v_fma_f64 v[15:16], v[15:16], -0.5, v[72:73]
	v_add_f64 v[94:95], v[82:83], -v[90:91]
	v_fma_f64 v[17:18], v[17:18], -0.5, v[74:75]
	v_add_f64 v[92:93], v[92:93], -v[88:89]
	v_fma_f64 v[62:63], v[104:105], s[10:11], v[66:67]
	v_fma_f64 v[66:67], v[104:105], s[8:9], v[66:67]
	v_fma_f64 v[78:79], v[21:22], s[10:11], v[11:12]
	v_fma_f64 v[82:83], v[21:22], s[8:9], v[11:12]
	v_mul_u32_u24_e32 v11, 51, v13
	v_add_lshl_u32 v211, v11, v23, 4
	ds_write_b128 v211, v[3:6]
	ds_write_b128 v211, v[52:55] offset:272
	ds_write_b128 v211, v[56:59] offset:544
	v_mad_legacy_u16 v3, v24, 51, v29
	v_add_f64 v[70:71], v[19:20], v[86:87]
	v_add_f64 v[72:73], v[84:85], v[88:89]
	;; [unrolled: 1-line block ×3, first 2 shown]
	v_lshlrev_b32_e32 v212, 4, v3
	v_mad_legacy_u16 v3, v25, 51, v26
	v_fma_f64 v[84:85], v[94:95], s[8:9], v[15:16]
	v_fma_f64 v[86:87], v[92:93], s[10:11], v[17:18]
	ds_write_b128 v212, v[7:10]
	ds_write_b128 v212, v[60:63] offset:272
	ds_write_b128 v212, v[64:67] offset:544
	v_lshlrev_b32_e32 v64, 4, v3
	v_mad_legacy_u16 v3, v27, 51, v28
	v_fma_f64 v[88:89], v[94:95], s[10:11], v[15:16]
	v_fma_f64 v[90:91], v[92:93], s[8:9], v[17:18]
	v_lshlrev_b32_e32 v65, 4, v3
	v_mul_lo_u16_sdwa v3, v228, s17 dst_sel:DWORD dst_unused:UNUSED_PAD src0_sel:BYTE_0 src1_sel:DWORD
	v_lshrrev_b16_e32 v23, 13, v3
	v_mul_lo_u16_e32 v3, 51, v23
	v_sub_u16_e32 v3, v228, v3
	v_and_b32_e32 v24, 0xff, v3
	v_lshlrev_b32_e32 v3, 5, v24
	s_mov_b32 s17, 0xa0a1
	ds_write_b128 v64, v[68:71]
	ds_write_b128 v64, v[76:79] offset:272
	ds_write_b128 v64, v[80:83] offset:544
	ds_write_b128 v65, v[72:75]
	ds_write_b128 v65, v[84:87] offset:272
	ds_write_b128 v65, v[88:91] offset:544
	s_waitcnt lgkmcnt(0)
	s_barrier
	global_load_dwordx4 v[66:69], v3, s[2:3] offset:560
	global_load_dwordx4 v[70:73], v3, s[2:3] offset:544
	v_mul_u32_u24_sdwa v3, v2, s17 dst_sel:DWORD dst_unused:UNUSED_PAD src0_sel:WORD_0 src1_sel:DWORD
	v_lshrrev_b32_e32 v25, 21, v3
	v_mul_lo_u16_e32 v3, 51, v25
	v_sub_u16_e32 v26, v2, v3
	v_lshlrev_b16_e32 v2, 5, v26
	v_mov_b32_e32 v4, s3
	v_add_co_u32_e32 v2, vcc, s2, v2
	v_addc_co_u32_e32 v3, vcc, 0, v4, vcc
	global_load_dwordx4 v[74:77], v[2:3], off offset:560
	global_load_dwordx4 v[233:236], v[2:3], off offset:544
	v_mul_u32_u24_sdwa v2, v0, s17 dst_sel:DWORD dst_unused:UNUSED_PAD src0_sel:WORD_0 src1_sel:DWORD
	v_lshrrev_b32_e32 v27, 21, v2
	v_mul_lo_u16_e32 v2, 51, v27
	v_sub_u16_e32 v28, v0, v2
	v_lshlrev_b16_e32 v2, 5, v28
	v_add_co_u32_e32 v2, vcc, s2, v2
	v_addc_co_u32_e32 v3, vcc, 0, v4, vcc
	global_load_dwordx4 v[237:240], v[2:3], off offset:560
	global_load_dwordx4 v[241:244], v[2:3], off offset:544
	v_mul_u32_u24_sdwa v2, v1, s17 dst_sel:DWORD dst_unused:UNUSED_PAD src0_sel:WORD_0 src1_sel:DWORD
	v_lshrrev_b32_e32 v29, 21, v2
	v_mul_lo_u16_e32 v2, 51, v29
	v_sub_u16_e32 v30, v1, v2
	v_lshlrev_b16_e32 v2, 5, v30
	v_add_co_u32_e32 v2, vcc, s2, v2
	v_addc_co_u32_e32 v3, vcc, 0, v4, vcc
	global_load_dwordx4 v[80:83], v[2:3], off offset:544
	global_load_dwordx4 v[245:248], v[2:3], off offset:560
	ds_read_b128 v[2:5], v14
	ds_read_b128 v[6:9], v14 offset:2448
	ds_read_b128 v[10:13], v14 offset:9792
	;; [unrolled: 1-line block ×11, first 2 shown]
	s_waitcnt vmcnt(0) lgkmcnt(0)
	s_barrier
	v_mul_f64 v[19:20], v[90:91], v[68:69]
	v_mul_f64 v[15:16], v[12:13], v[72:73]
	;; [unrolled: 1-line block ×4, first 2 shown]
	v_fma_f64 v[10:11], v[10:11], v[70:71], -v[15:16]
	v_fma_f64 v[12:13], v[12:13], v[70:71], v[17:18]
	v_fma_f64 v[17:18], v[88:89], v[66:67], -v[19:20]
	v_mul_f64 v[120:121], v[86:87], v[235:236]
	v_mul_f64 v[15:16], v[84:85], v[235:236]
	;; [unrolled: 1-line block ×3, first 2 shown]
	v_fma_f64 v[21:22], v[90:91], v[66:67], v[21:22]
	v_mul_f64 v[88:89], v[92:93], v[76:77]
	v_fma_f64 v[90:91], v[84:85], v[233:234], -v[120:121]
	v_fma_f64 v[15:16], v[86:87], v[233:234], v[15:16]
	v_mul_f64 v[84:85], v[106:107], v[243:244]
	v_mul_f64 v[120:121], v[104:105], v[243:244]
	;; [unrolled: 1-line block ×3, first 2 shown]
	v_fma_f64 v[19:20], v[92:93], v[74:75], -v[19:20]
	v_mul_f64 v[92:93], v[112:113], v[239:240]
	v_fma_f64 v[94:95], v[94:95], v[74:75], v[88:89]
	v_fma_f64 v[122:123], v[104:105], v[241:242], -v[84:85]
	v_mul_f64 v[88:89], v[110:111], v[82:83]
	v_mul_f64 v[84:85], v[108:109], v[82:83]
	v_fma_f64 v[106:107], v[106:107], v[241:242], v[120:121]
	v_fma_f64 v[112:113], v[112:113], v[237:238], -v[86:87]
	v_add_f64 v[86:87], v[10:11], v[17:18]
	v_fma_f64 v[114:115], v[114:115], v[237:238], v[92:93]
	v_mul_f64 v[92:93], v[118:119], v[247:248]
	v_add_f64 v[104:105], v[2:3], v[10:11]
	v_fma_f64 v[120:121], v[108:109], v[80:81], -v[88:89]
	v_mul_f64 v[88:89], v[116:117], v[247:248]
	v_fma_f64 v[110:111], v[110:111], v[80:81], v[84:85]
	v_add_f64 v[84:85], v[12:13], v[21:22]
	v_add_f64 v[108:109], v[12:13], -v[21:22]
	v_add_f64 v[12:13], v[4:5], v[12:13]
	v_fma_f64 v[86:87], v[86:87], -0.5, v[2:3]
	v_fma_f64 v[116:117], v[116:117], v[245:246], -v[92:93]
	v_add_f64 v[2:3], v[104:105], v[17:18]
	v_fma_f64 v[118:119], v[118:119], v[245:246], v[88:89]
	v_add_f64 v[88:89], v[90:91], v[19:20]
	v_fma_f64 v[92:93], v[84:85], -0.5, v[4:5]
	v_add_f64 v[17:18], v[10:11], -v[17:18]
	v_add_f64 v[4:5], v[12:13], v[21:22]
	v_add_f64 v[21:22], v[15:16], v[94:95]
	;; [unrolled: 1-line block ×3, first 2 shown]
	v_add_f64 v[124:125], v[15:16], -v[94:95]
	v_add_f64 v[15:16], v[8:9], v[15:16]
	v_add_f64 v[126:127], v[122:123], v[112:113]
	v_fma_f64 v[10:11], v[108:109], s[8:9], v[86:87]
	v_fma_f64 v[84:85], v[108:109], s[10:11], v[86:87]
	v_fma_f64 v[108:109], v[88:89], -0.5, v[6:7]
	v_fma_f64 v[12:13], v[17:18], s[10:11], v[92:93]
	v_fma_f64 v[86:87], v[17:18], s[8:9], v[92:93]
	v_fma_f64 v[17:18], v[21:22], -0.5, v[8:9]
	v_add_f64 v[21:22], v[90:91], -v[19:20]
	v_add_f64 v[6:7], v[104:105], v[19:20]
	v_add_f64 v[19:20], v[96:97], v[122:123]
	;; [unrolled: 1-line block ×4, first 2 shown]
	v_fma_f64 v[126:127], v[126:127], -0.5, v[96:97]
	v_add_f64 v[128:129], v[106:107], -v[114:115]
	v_fma_f64 v[88:89], v[124:125], s[8:9], v[108:109]
	v_fma_f64 v[90:91], v[21:22], s[10:11], v[17:18]
	;; [unrolled: 1-line block ×3, first 2 shown]
	v_add_f64 v[96:97], v[19:20], v[112:113]
	v_add_f64 v[17:18], v[120:121], v[116:117]
	;; [unrolled: 1-line block ×3, first 2 shown]
	v_fma_f64 v[15:16], v[15:16], -0.5, v[98:99]
	v_add_f64 v[112:113], v[122:123], -v[112:113]
	v_fma_f64 v[92:93], v[124:125], s[10:11], v[108:109]
	v_fma_f64 v[104:105], v[128:129], s[8:9], v[126:127]
	;; [unrolled: 1-line block ×3, first 2 shown]
	v_add_f64 v[21:22], v[98:99], v[106:107]
	v_add_f64 v[122:123], v[100:101], v[120:121]
	;; [unrolled: 1-line block ×3, first 2 shown]
	v_fma_f64 v[17:18], v[17:18], -0.5, v[100:101]
	v_add_f64 v[124:125], v[110:111], -v[118:119]
	v_fma_f64 v[19:20], v[19:20], -0.5, v[102:103]
	v_add_f64 v[120:121], v[120:121], -v[116:117]
	v_fma_f64 v[106:107], v[112:113], s[10:11], v[15:16]
	v_fma_f64 v[110:111], v[112:113], s[8:9], v[15:16]
	v_mul_u32_u24_e32 v15, 0x99, v23
	v_add_lshl_u32 v227, v15, v24, 4
	ds_write_b128 v227, v[2:5]
	ds_write_b128 v227, v[10:13] offset:816
	ds_write_b128 v227, v[84:87] offset:1632
	v_mad_legacy_u16 v2, v25, s16, v26
	v_lshlrev_b32_e32 v249, 4, v2
	v_mad_legacy_u16 v2, v27, s16, v28
	v_lshlrev_b32_e32 v250, 4, v2
	v_mad_legacy_u16 v2, v29, s16, v30
	s_movk_i32 s16, 0x358b
	v_lshlrev_b32_e32 v251, 4, v2
	v_mul_u32_u24_sdwa v2, v0, s16 dst_sel:DWORD dst_unused:UNUSED_PAD src0_sel:WORD_0 src1_sel:DWORD
	v_add_f64 v[98:99], v[21:22], v[114:115]
	v_add_f64 v[100:101], v[122:123], v[116:117]
	;; [unrolled: 1-line block ×3, first 2 shown]
	v_lshrrev_b32_e32 v2, 21, v2
	v_fma_f64 v[112:113], v[124:125], s[8:9], v[17:18]
	v_fma_f64 v[114:115], v[120:121], s[10:11], v[19:20]
	v_mul_lo_u16_e32 v2, 0x99, v2
	v_fma_f64 v[116:117], v[124:125], s[10:11], v[17:18]
	v_fma_f64 v[118:119], v[120:121], s[8:9], v[19:20]
	v_sub_u16_e32 v0, v0, v2
	v_lshlrev_b32_e32 v78, 4, v0
	v_mul_u32_u24_sdwa v0, v1, s16 dst_sel:DWORD dst_unused:UNUSED_PAD src0_sel:WORD_0 src1_sel:DWORD
	v_lshrrev_b32_e32 v0, 21, v0
	v_mul_lo_u16_e32 v0, 0x99, v0
	v_sub_u16_e32 v0, v1, v0
	v_lshlrev_b32_e32 v15, 4, v228
	v_lshlrev_b32_e32 v79, 4, v0
	v_mul_u32_u24_sdwa v0, v31, s16 dst_sel:DWORD dst_unused:UNUSED_PAD src0_sel:WORD_0 src1_sel:DWORD
	ds_write_b128 v249, v[6:9]
	ds_write_b128 v249, v[88:91] offset:816
	ds_write_b128 v249, v[92:95] offset:1632
	ds_write_b128 v250, v[96:99]
	ds_write_b128 v250, v[104:107] offset:816
	ds_write_b128 v250, v[108:111] offset:1632
	;; [unrolled: 3-line block ×3, first 2 shown]
	s_waitcnt lgkmcnt(0)
	s_barrier
	global_load_dwordx4 v[84:87], v15, s[2:3] offset:2176
	global_load_dwordx4 v[88:91], v78, s[2:3] offset:2176
	;; [unrolled: 1-line block ×3, first 2 shown]
	v_lshrrev_b32_e32 v0, 21, v0
	v_mul_lo_u16_e32 v0, 0x99, v0
	v_sub_u16_e32 v0, v31, v0
	v_lshlrev_b32_e32 v213, 4, v0
	global_load_dwordx4 v[96:99], v213, s[2:3] offset:2176
	v_mul_u32_u24_sdwa v0, v32, s16 dst_sel:DWORD dst_unused:UNUSED_PAD src0_sel:WORD_0 src1_sel:DWORD
	v_lshrrev_b32_e32 v0, 21, v0
	v_mul_lo_u16_e32 v0, 0x99, v0
	v_sub_u16_e32 v0, v32, v0
	v_lshlrev_b32_e32 v226, 4, v0
	global_load_dwordx4 v[100:103], v226, s[2:3] offset:2176
	ds_read_b128 v[0:3], v14
	ds_read_b128 v[4:7], v14 offset:2448
	ds_read_b128 v[8:11], v14 offset:14688
	;; [unrolled: 1-line block ×11, first 2 shown]
	s_waitcnt vmcnt(0) lgkmcnt(0)
	s_barrier
	s_movk_i32 s16, 0x50
	v_mul_f64 v[12:13], v[10:11], v[86:87]
	v_mul_f64 v[16:17], v[8:9], v[86:87]
	v_mul_f64 v[18:19], v[106:107], v[86:87]
	v_mul_f64 v[20:21], v[104:105], v[86:87]
	v_mul_f64 v[22:23], v[118:119], v[90:91]
	v_mul_f64 v[140:141], v[116:117], v[90:91]
	v_mul_f64 v[142:143], v[122:123], v[94:95]
	v_mul_f64 v[144:145], v[120:121], v[94:95]
	v_fma_f64 v[8:9], v[8:9], v[84:85], -v[12:13]
	v_fma_f64 v[10:11], v[10:11], v[84:85], v[16:17]
	v_fma_f64 v[12:13], v[104:105], v[84:85], -v[18:19]
	v_fma_f64 v[16:17], v[106:107], v[84:85], v[20:21]
	;; [unrolled: 2-line block ×3, first 2 shown]
	v_fma_f64 v[22:23], v[120:121], v[92:93], -v[142:143]
	v_mul_f64 v[116:117], v[134:135], v[98:99]
	v_mul_f64 v[118:119], v[132:133], v[98:99]
	;; [unrolled: 1-line block ×4, first 2 shown]
	v_fma_f64 v[122:123], v[122:123], v[92:93], v[144:145]
	v_add_f64 v[8:9], v[0:1], -v[8:9]
	v_add_f64 v[10:11], v[2:3], -v[10:11]
	;; [unrolled: 1-line block ×4, first 2 shown]
	v_fma_f64 v[12:13], v[132:133], v[96:97], -v[116:117]
	v_fma_f64 v[16:17], v[134:135], v[96:97], v[118:119]
	v_fma_f64 v[136:137], v[136:137], v[100:101], -v[120:121]
	v_fma_f64 v[138:139], v[138:139], v[100:101], v[140:141]
	v_add_f64 v[116:117], v[108:109], -v[18:19]
	v_add_f64 v[118:119], v[110:111], -v[20:21]
	;; [unrolled: 1-line block ×4, first 2 shown]
	v_fma_f64 v[0:1], v[0:1], 2.0, -v[8:9]
	v_fma_f64 v[2:3], v[2:3], 2.0, -v[10:11]
	v_add_f64 v[132:133], v[124:125], -v[12:13]
	v_add_f64 v[134:135], v[126:127], -v[16:17]
	;; [unrolled: 1-line block ×4, first 2 shown]
	v_fma_f64 v[4:5], v[4:5], 2.0, -v[104:105]
	v_fma_f64 v[6:7], v[6:7], 2.0, -v[106:107]
	;; [unrolled: 1-line block ×10, first 2 shown]
	ds_write_b128 v14, v[0:3]
	ds_write_b128 v14, v[8:11] offset:2448
	ds_write_b128 v14, v[4:7] offset:4896
	;; [unrolled: 1-line block ×11, first 2 shown]
	v_mov_b32_e32 v0, s2
	v_mov_b32_e32 v1, s3
	v_mad_u64_u32 v[0:1], s[2:3], v228, s16, v[0:1]
	s_movk_i32 s3, 0x1000
	s_waitcnt lgkmcnt(0)
	v_add_co_u32_e32 v2, vcc, s3, v0
	v_addc_co_u32_e32 v3, vcc, 0, v1, vcc
	s_barrier
	global_load_dwordx4 v[104:107], v[2:3], off offset:528
	s_movk_i32 s2, 0x1210
	v_add_co_u32_e32 v4, vcc, s2, v0
	v_addc_co_u32_e32 v5, vcc, 0, v1, vcc
	global_load_dwordx4 v[120:123], v[4:5], off offset:16
	global_load_dwordx4 v[112:115], v[4:5], off offset:32
	;; [unrolled: 1-line block ×4, first 2 shown]
	s_movk_i32 s3, 0x4000
	v_add_co_u32_e32 v2, vcc, s3, v0
	v_addc_co_u32_e32 v3, vcc, 0, v1, vcc
	global_load_dwordx4 v[132:135], v[2:3], off offset:480
	s_movk_i32 s2, 0x41e0
	v_add_co_u32_e32 v0, vcc, s2, v0
	v_addc_co_u32_e32 v1, vcc, 0, v1, vcc
	global_load_dwordx4 v[140:143], v[0:1], off offset:16
	global_load_dwordx4 v[136:139], v[0:1], off offset:32
	;; [unrolled: 1-line block ×4, first 2 shown]
	ds_read_b128 v[0:3], v14
	ds_read_b128 v[4:7], v14 offset:2448
	ds_read_b128 v[8:11], v14 offset:4896
	;; [unrolled: 1-line block ×11, first 2 shown]
	s_waitcnt vmcnt(9) lgkmcnt(9)
	v_mul_f64 v[12:13], v[10:11], v[106:107]
	v_mul_f64 v[16:17], v[8:9], v[106:107]
	s_waitcnt vmcnt(8) lgkmcnt(7)
	v_mul_f64 v[18:19], v[150:151], v[122:123]
	v_mul_f64 v[20:21], v[148:149], v[122:123]
	s_waitcnt vmcnt(7) lgkmcnt(5)
	v_mul_f64 v[22:23], v[158:159], v[114:115]
	v_fma_f64 v[8:9], v[8:9], v[104:105], -v[12:13]
	v_mul_f64 v[12:13], v[156:157], v[114:115]
	v_fma_f64 v[10:11], v[10:11], v[104:105], v[16:17]
	s_waitcnt vmcnt(6) lgkmcnt(3)
	v_mul_f64 v[16:17], v[166:167], v[110:111]
	v_fma_f64 v[18:19], v[148:149], v[120:121], -v[18:19]
	v_mul_f64 v[148:149], v[164:165], v[110:111]
	v_fma_f64 v[20:21], v[150:151], v[120:121], v[20:21]
	v_fma_f64 v[22:23], v[156:157], v[112:113], -v[22:23]
	s_waitcnt vmcnt(5) lgkmcnt(1)
	v_mul_f64 v[150:151], v[174:175], v[130:131]
	v_mul_f64 v[156:157], v[172:173], v[130:131]
	v_fma_f64 v[12:13], v[158:159], v[112:113], v[12:13]
	s_waitcnt vmcnt(4)
	v_mul_f64 v[158:159], v[146:147], v[134:135]
	v_fma_f64 v[16:17], v[164:165], v[108:109], -v[16:17]
	v_fma_f64 v[148:149], v[166:167], v[108:109], v[148:149]
	v_mul_f64 v[164:165], v[144:145], v[134:135]
	s_waitcnt vmcnt(3)
	v_mul_f64 v[166:167], v[154:155], v[142:143]
	v_fma_f64 v[150:151], v[172:173], v[128:129], -v[150:151]
	v_fma_f64 v[156:157], v[174:175], v[128:129], v[156:157]
	v_mul_f64 v[172:173], v[152:153], v[142:143]
	v_fma_f64 v[180:181], v[144:145], v[132:133], -v[158:159]
	s_waitcnt vmcnt(2)
	v_mul_f64 v[144:145], v[160:161], v[138:139]
	v_mul_f64 v[174:175], v[162:163], v[138:139]
	v_fma_f64 v[182:183], v[146:147], v[132:133], v[164:165]
	v_fma_f64 v[166:167], v[152:153], v[140:141], -v[166:167]
	s_waitcnt vmcnt(1)
	v_mul_f64 v[146:147], v[170:171], v[126:127]
	v_mul_f64 v[152:153], v[168:169], v[126:127]
	v_fma_f64 v[172:173], v[154:155], v[140:141], v[172:173]
	v_add_f64 v[154:155], v[18:19], v[16:17]
	v_fma_f64 v[162:163], v[162:163], v[136:137], v[144:145]
	v_add_f64 v[144:145], v[22:23], v[150:151]
	v_add_f64 v[158:159], v[12:13], v[156:157]
	v_fma_f64 v[174:175], v[160:161], v[136:137], -v[174:175]
	v_fma_f64 v[168:169], v[168:169], v[124:125], -v[146:147]
	v_fma_f64 v[170:171], v[170:171], v[124:125], v[152:153]
	s_waitcnt vmcnt(0) lgkmcnt(0)
	v_mul_f64 v[146:147], v[178:179], v[118:119]
	v_add_f64 v[152:153], v[0:1], v[18:19]
	v_fma_f64 v[0:1], v[154:155], -0.5, v[0:1]
	v_add_f64 v[154:155], v[20:21], -v[148:149]
	v_fma_f64 v[144:145], v[144:145], -0.5, v[8:9]
	v_fma_f64 v[158:159], v[158:159], -0.5, v[10:11]
	v_add_f64 v[160:161], v[22:23], -v[150:151]
	v_add_f64 v[164:165], v[12:13], -v[156:157]
	v_fma_f64 v[184:185], v[176:177], v[116:117], -v[146:147]
	v_mul_f64 v[146:147], v[176:177], v[118:119]
	v_add_f64 v[186:187], v[152:153], v[16:17]
	v_fma_f64 v[188:189], v[154:155], s[8:9], v[0:1]
	v_fma_f64 v[0:1], v[154:155], s[10:11], v[0:1]
	v_add_f64 v[176:177], v[20:21], v[148:149]
	v_fma_f64 v[152:153], v[160:161], s[10:11], v[158:159]
	v_fma_f64 v[154:155], v[164:165], s[10:11], v[144:145]
	;; [unrolled: 3-line block ×3, first 2 shown]
	v_add_f64 v[16:17], v[18:19], -v[16:17]
	v_add_f64 v[8:9], v[8:9], v[22:23]
	v_fma_f64 v[178:179], v[178:179], v[116:117], v[146:147]
	v_mul_f64 v[18:19], v[152:153], s[8:9]
	v_mul_f64 v[22:23], v[154:155], -0.5
	v_fma_f64 v[2:3], v[176:177], -0.5, v[2:3]
	v_add_f64 v[10:11], v[10:11], v[12:13]
	v_mul_f64 v[12:13], v[144:145], s[10:11]
	v_add_f64 v[20:21], v[20:21], v[148:149]
	v_mul_f64 v[148:149], v[158:159], -0.5
	v_add_f64 v[8:9], v[8:9], v[150:151]
	v_fma_f64 v[18:19], v[144:145], 0.5, v[18:19]
	v_fma_f64 v[22:23], v[158:159], s[8:9], v[22:23]
	v_add_f64 v[158:159], v[166:167], v[168:169]
	v_add_f64 v[190:191], v[174:175], v[184:185]
	;; [unrolled: 1-line block ×3, first 2 shown]
	v_fma_f64 v[176:177], v[16:17], s[10:11], v[2:3]
	v_add_f64 v[10:11], v[10:11], v[156:157]
	v_fma_f64 v[12:13], v[152:153], 0.5, v[12:13]
	v_fma_f64 v[2:3], v[16:17], s[8:9], v[2:3]
	v_fma_f64 v[16:17], v[154:155], s[10:11], v[148:149]
	v_add_f64 v[144:145], v[186:187], v[8:9]
	v_add_f64 v[148:149], v[188:189], v[18:19]
	;; [unrolled: 1-line block ×3, first 2 shown]
	v_add_f64 v[156:157], v[186:187], -v[8:9]
	v_add_f64 v[160:161], v[188:189], -v[18:19]
	;; [unrolled: 1-line block ×3, first 2 shown]
	v_add_f64 v[0:1], v[4:5], v[166:167]
	v_fma_f64 v[4:5], v[158:159], -0.5, v[4:5]
	v_add_f64 v[8:9], v[172:173], -v[170:171]
	v_fma_f64 v[18:19], v[190:191], -0.5, v[180:181]
	v_fma_f64 v[22:23], v[192:193], -0.5, v[182:183]
	v_add_f64 v[186:187], v[174:175], -v[184:185]
	v_add_f64 v[188:189], v[162:163], -v[178:179]
	v_add_f64 v[146:147], v[20:21], v[10:11]
	v_add_f64 v[190:191], v[172:173], v[170:171]
	v_add_f64 v[158:159], v[20:21], -v[10:11]
	v_fma_f64 v[10:11], v[8:9], s[8:9], v[4:5]
	v_add_f64 v[20:21], v[6:7], v[172:173]
	v_fma_f64 v[4:5], v[8:9], s[10:11], v[4:5]
	v_fma_f64 v[8:9], v[186:187], s[10:11], v[22:23]
	v_fma_f64 v[172:173], v[188:189], s[10:11], v[18:19]
	v_fma_f64 v[18:19], v[188:189], s[8:9], v[18:19]
	v_fma_f64 v[22:23], v[186:187], s[8:9], v[22:23]
	v_add_f64 v[0:1], v[0:1], v[168:169]
	v_fma_f64 v[6:7], v[190:191], -0.5, v[6:7]
	v_add_f64 v[166:167], v[166:167], -v[168:169]
	v_add_f64 v[20:21], v[20:21], v[170:171]
	v_add_f64 v[168:169], v[180:181], v[174:175]
	v_mul_f64 v[170:171], v[8:9], s[8:9]
	v_mul_f64 v[174:175], v[172:173], -0.5
	v_add_f64 v[162:163], v[182:183], v[162:163]
	v_mul_f64 v[180:181], v[18:19], s[10:11]
	v_mul_f64 v[182:183], v[22:23], -0.5
	v_fma_f64 v[186:187], v[166:167], s[10:11], v[6:7]
	v_fma_f64 v[6:7], v[166:167], s[8:9], v[6:7]
	v_add_f64 v[184:185], v[168:169], v[184:185]
	v_fma_f64 v[18:19], v[18:19], 0.5, v[170:171]
	v_fma_f64 v[22:23], v[22:23], s[8:9], v[174:175]
	v_add_f64 v[190:191], v[162:163], v[178:179]
	v_fma_f64 v[8:9], v[8:9], 0.5, v[180:181]
	v_fma_f64 v[192:193], v[172:173], s[10:11], v[182:183]
	v_add_f64 v[150:151], v[176:177], v[12:13]
	v_add_f64 v[154:155], v[2:3], v[16:17]
	v_add_f64 v[162:163], v[176:177], -v[12:13]
	v_add_f64 v[166:167], v[2:3], -v[16:17]
	v_add_f64 v[168:169], v[0:1], v[184:185]
	v_add_f64 v[172:173], v[10:11], v[18:19]
	v_add_f64 v[176:177], v[4:5], v[22:23]
	v_add_f64 v[170:171], v[20:21], v[190:191]
	v_add_f64 v[174:175], v[186:187], v[8:9]
	v_add_f64 v[178:179], v[6:7], v[192:193]
	v_add_f64 v[180:181], v[0:1], -v[184:185]
	v_add_f64 v[184:185], v[10:11], -v[18:19]
	v_add_f64 v[188:189], v[4:5], -v[22:23]
	v_add_f64 v[182:183], v[20:21], -v[190:191]
	v_add_f64 v[186:187], v[186:187], -v[8:9]
	v_add_f64 v[190:191], v[6:7], -v[192:193]
	ds_write_b128 v14, v[144:147]
	ds_write_b128 v14, v[148:151] offset:4896
	ds_write_b128 v14, v[152:155] offset:9792
	;; [unrolled: 1-line block ×11, first 2 shown]
	s_waitcnt lgkmcnt(0)
	s_barrier
	s_and_saveexec_b64 s[2:3], s[0:1]
	s_cbranch_execz .LBB0_9
; %bb.8:
	v_add_co_u32_e32 v0, vcc, s12, v255
	v_mov_b32_e32 v1, s13
	v_addc_co_u32_e32 v1, vcc, 0, v1, vcc
	v_add_co_u32_e32 v16, vcc, 0x72c0, v0
	v_addc_co_u32_e32 v17, vcc, 0, v1, vcc
	v_add_co_u32_e32 v6, vcc, 0x7000, v0
	v_addc_co_u32_e32 v7, vcc, 0, v1, vcc
	global_load_dwordx4 v[6:9], v[6:7], off offset:704
	ds_read_b128 v[2:5], v14
	s_mov_b32 s8, 0x8000
	s_waitcnt vmcnt(0) lgkmcnt(0)
	v_mul_f64 v[10:11], v[4:5], v[8:9]
	v_fma_f64 v[10:11], v[2:3], v[6:7], -v[10:11]
	v_mul_f64 v[2:3], v[2:3], v[8:9]
	v_fma_f64 v[12:13], v[4:5], v[6:7], v[2:3]
	global_load_dwordx4 v[6:9], v[16:17], off offset:1728
	ds_write_b128 v14, v[10:13]
	ds_read_b128 v[2:5], v15 offset:1728
	s_waitcnt vmcnt(0) lgkmcnt(0)
	v_mul_f64 v[10:11], v[4:5], v[8:9]
	v_fma_f64 v[10:11], v[2:3], v[6:7], -v[10:11]
	v_mul_f64 v[2:3], v[2:3], v[8:9]
	v_fma_f64 v[12:13], v[4:5], v[6:7], v[2:3]
	global_load_dwordx4 v[6:9], v[16:17], off offset:3456
	ds_read_b128 v[2:5], v15 offset:3456
	v_add_co_u32_e32 v16, vcc, s8, v0
	v_addc_co_u32_e32 v17, vcc, 0, v1, vcc
	s_mov_b32 s8, 0x9000
	ds_write_b128 v15, v[10:13] offset:1728
	s_waitcnt vmcnt(0) lgkmcnt(1)
	v_mul_f64 v[10:11], v[4:5], v[8:9]
	v_fma_f64 v[10:11], v[2:3], v[6:7], -v[10:11]
	v_mul_f64 v[2:3], v[2:3], v[8:9]
	v_fma_f64 v[12:13], v[4:5], v[6:7], v[2:3]
	global_load_dwordx4 v[6:9], v[16:17], off offset:1792
	ds_read_b128 v[2:5], v15 offset:5184
	ds_write_b128 v15, v[10:13] offset:3456
	s_waitcnt vmcnt(0) lgkmcnt(1)
	v_mul_f64 v[10:11], v[4:5], v[8:9]
	v_fma_f64 v[10:11], v[2:3], v[6:7], -v[10:11]
	v_mul_f64 v[2:3], v[2:3], v[8:9]
	v_fma_f64 v[12:13], v[4:5], v[6:7], v[2:3]
	global_load_dwordx4 v[6:9], v[16:17], off offset:3520
	ds_read_b128 v[2:5], v15 offset:6912
	v_add_co_u32_e32 v16, vcc, s8, v0
	v_addc_co_u32_e32 v17, vcc, 0, v1, vcc
	s_mov_b32 s8, 0xa000
	ds_write_b128 v15, v[10:13] offset:5184
	s_waitcnt vmcnt(0) lgkmcnt(1)
	v_mul_f64 v[10:11], v[4:5], v[8:9]
	v_fma_f64 v[10:11], v[2:3], v[6:7], -v[10:11]
	v_mul_f64 v[2:3], v[2:3], v[8:9]
	v_fma_f64 v[12:13], v[4:5], v[6:7], v[2:3]
	global_load_dwordx4 v[6:9], v[16:17], off offset:1152
	ds_read_b128 v[2:5], v15 offset:8640
	ds_write_b128 v15, v[10:13] offset:6912
	;; [unrolled: 19-line block ×3, first 2 shown]
	s_waitcnt vmcnt(0) lgkmcnt(1)
	v_mul_f64 v[10:11], v[4:5], v[8:9]
	v_fma_f64 v[10:11], v[2:3], v[6:7], -v[10:11]
	v_mul_f64 v[2:3], v[2:3], v[8:9]
	v_fma_f64 v[12:13], v[4:5], v[6:7], v[2:3]
	global_load_dwordx4 v[6:9], v[16:17], off offset:2240
	ds_read_b128 v[2:5], v15 offset:13824
	ds_write_b128 v15, v[10:13] offset:12096
	s_waitcnt vmcnt(0) lgkmcnt(1)
	v_mul_f64 v[10:11], v[4:5], v[8:9]
	v_fma_f64 v[10:11], v[2:3], v[6:7], -v[10:11]
	v_mul_f64 v[2:3], v[2:3], v[8:9]
	v_fma_f64 v[12:13], v[4:5], v[6:7], v[2:3]
	global_load_dwordx4 v[6:9], v[16:17], off offset:3968
	ds_read_b128 v[2:5], v15 offset:15552
	v_add_co_u32_e32 v16, vcc, s8, v0
	v_addc_co_u32_e32 v17, vcc, 0, v1, vcc
	s_mov_b32 s8, 0xc000
	ds_write_b128 v15, v[10:13] offset:13824
	s_waitcnt vmcnt(0) lgkmcnt(1)
	v_mul_f64 v[10:11], v[4:5], v[8:9]
	v_fma_f64 v[10:11], v[2:3], v[6:7], -v[10:11]
	v_mul_f64 v[2:3], v[2:3], v[8:9]
	v_fma_f64 v[12:13], v[4:5], v[6:7], v[2:3]
	global_load_dwordx4 v[6:9], v[16:17], off offset:1600
	ds_read_b128 v[2:5], v15 offset:17280
	ds_write_b128 v15, v[10:13] offset:15552
	s_waitcnt vmcnt(0) lgkmcnt(1)
	v_mul_f64 v[10:11], v[4:5], v[8:9]
	v_fma_f64 v[10:11], v[2:3], v[6:7], -v[10:11]
	v_mul_f64 v[2:3], v[2:3], v[8:9]
	v_fma_f64 v[12:13], v[4:5], v[6:7], v[2:3]
	global_load_dwordx4 v[6:9], v[16:17], off offset:3328
	ds_read_b128 v[2:5], v15 offset:19008
	v_add_co_u32_e32 v16, vcc, s8, v0
	v_addc_co_u32_e32 v17, vcc, 0, v1, vcc
	s_mov_b32 s8, 0xd000
	ds_write_b128 v15, v[10:13] offset:17280
	s_waitcnt vmcnt(0) lgkmcnt(1)
	v_mul_f64 v[10:11], v[4:5], v[8:9]
	v_fma_f64 v[10:11], v[2:3], v[6:7], -v[10:11]
	v_mul_f64 v[2:3], v[2:3], v[8:9]
	v_fma_f64 v[12:13], v[4:5], v[6:7], v[2:3]
	global_load_dwordx4 v[6:9], v[16:17], off offset:960
	ds_read_b128 v[2:5], v15 offset:20736
	ds_write_b128 v15, v[10:13] offset:19008
	s_waitcnt vmcnt(0) lgkmcnt(1)
	v_mul_f64 v[10:11], v[4:5], v[8:9]
	v_fma_f64 v[10:11], v[2:3], v[6:7], -v[10:11]
	v_mul_f64 v[2:3], v[2:3], v[8:9]
	v_fma_f64 v[12:13], v[4:5], v[6:7], v[2:3]
	global_load_dwordx4 v[6:9], v[16:17], off offset:2688
	ds_read_b128 v[2:5], v15 offset:22464
	ds_write_b128 v15, v[10:13] offset:20736
	s_waitcnt vmcnt(0) lgkmcnt(1)
	v_mul_f64 v[10:11], v[4:5], v[8:9]
	v_fma_f64 v[10:11], v[2:3], v[6:7], -v[10:11]
	v_mul_f64 v[2:3], v[2:3], v[8:9]
	v_fma_f64 v[12:13], v[4:5], v[6:7], v[2:3]
	ds_read_b128 v[2:5], v15 offset:24192
	ds_write_b128 v15, v[10:13] offset:22464
	v_add_co_u32_e32 v12, vcc, s8, v0
	v_addc_co_u32_e32 v13, vcc, 0, v1, vcc
	global_load_dwordx4 v[6:9], v[12:13], off offset:320
	s_waitcnt vmcnt(0) lgkmcnt(1)
	v_mul_f64 v[0:1], v[4:5], v[8:9]
	v_fma_f64 v[0:1], v[2:3], v[6:7], -v[0:1]
	v_mul_f64 v[2:3], v[2:3], v[8:9]
	v_fma_f64 v[2:3], v[4:5], v[6:7], v[2:3]
	global_load_dwordx4 v[4:7], v[12:13], off offset:2048
	ds_write_b128 v15, v[0:3] offset:24192
	ds_read_b128 v[0:3], v15 offset:25920
	s_waitcnt vmcnt(0) lgkmcnt(0)
	v_mul_f64 v[8:9], v[2:3], v[6:7]
	v_fma_f64 v[8:9], v[0:1], v[4:5], -v[8:9]
	v_mul_f64 v[0:1], v[0:1], v[6:7]
	v_fma_f64 v[10:11], v[2:3], v[4:5], v[0:1]
	global_load_dwordx4 v[4:7], v[12:13], off offset:3776
	ds_read_b128 v[0:3], v15 offset:27648
	ds_write_b128 v15, v[8:11] offset:25920
	s_waitcnt vmcnt(0) lgkmcnt(1)
	v_mul_f64 v[8:9], v[2:3], v[6:7]
	v_fma_f64 v[8:9], v[0:1], v[4:5], -v[8:9]
	v_mul_f64 v[0:1], v[0:1], v[6:7]
	v_fma_f64 v[10:11], v[2:3], v[4:5], v[0:1]
	ds_write_b128 v15, v[8:11] offset:27648
.LBB0_9:
	s_or_b64 exec, exec, s[2:3]
	s_waitcnt lgkmcnt(0)
	s_barrier
	s_and_saveexec_b64 s[2:3], s[0:1]
	s_cbranch_execz .LBB0_11
; %bb.10:
	ds_read_b128 v[144:147], v14
	ds_read_b128 v[148:151], v14 offset:1728
	ds_read_b128 v[152:155], v14 offset:3456
	;; [unrolled: 1-line block ×12, first 2 shown]
	s_waitcnt lgkmcnt(0)
	buffer_store_dword v0, off, s[64:67], 0 ; 4-byte Folded Spill
	s_nop 0
	buffer_store_dword v1, off, s[64:67], 0 offset:4 ; 4-byte Folded Spill
	buffer_store_dword v2, off, s[64:67], 0 offset:8 ; 4-byte Folded Spill
	;; [unrolled: 1-line block ×3, first 2 shown]
	ds_read_b128 v[214:217], v14 offset:22464
	ds_read_b128 v[203:206], v14 offset:24192
	;; [unrolled: 1-line block ×4, first 2 shown]
.LBB0_11:
	s_or_b64 exec, exec, s[2:3]
	s_waitcnt vmcnt(0) lgkmcnt(0)
	s_barrier
	s_and_saveexec_b64 s[2:3], s[0:1]
	s_cbranch_execz .LBB0_13
; %bb.12:
	buffer_store_dword v229, off, s[64:67], 0 offset:144 ; 4-byte Folded Spill
	s_nop 0
	buffer_store_dword v230, off, s[64:67], 0 offset:148 ; 4-byte Folded Spill
	buffer_store_dword v231, off, s[64:67], 0 offset:152 ; 4-byte Folded Spill
	buffer_store_dword v232, off, s[64:67], 0 offset:156 ; 4-byte Folded Spill
	buffer_store_dword v74, off, s[64:67], 0 offset:224 ; 4-byte Folded Spill
	s_nop 0
	buffer_store_dword v75, off, s[64:67], 0 offset:228 ; 4-byte Folded Spill
	buffer_store_dword v76, off, s[64:67], 0 offset:232 ; 4-byte Folded Spill
	buffer_store_dword v77, off, s[64:67], 0 offset:236 ; 4-byte Folded Spill
	buffer_store_dword v78, off, s[64:67], 0 offset:240 ; 4-byte Folded Spill
	buffer_store_dword v79, off, s[64:67], 0 offset:264 ; 4-byte Folded Spill
	buffer_load_dword v76, off, s[64:67], 0 ; 4-byte Folded Reload
	s_nop 0
	buffer_load_dword v77, off, s[64:67], 0 offset:4 ; 4-byte Folded Reload
	buffer_load_dword v78, off, s[64:67], 0 offset:8 ; 4-byte Folded Reload
	;; [unrolled: 1-line block ×3, first 2 shown]
	v_add_f64 v[12:13], v[148:149], -v[195:196]
	s_mov_b32 s18, 0xacd6c6b4
	buffer_store_dword v226, off, s[64:67], 0 offset:296 ; 4-byte Folded Spill
	buffer_store_dword v227, off, s[64:67], 0 offset:336 ; 4-byte Folded Spill
	s_mov_b32 s19, 0xbfc7851a
	buffer_store_dword v245, off, s[64:67], 0 offset:320 ; 4-byte Folded Spill
	s_nop 0
	buffer_store_dword v246, off, s[64:67], 0 offset:324 ; 4-byte Folded Spill
	buffer_store_dword v247, off, s[64:67], 0 offset:328 ; 4-byte Folded Spill
	;; [unrolled: 1-line block ×3, first 2 shown]
	v_add_f64 v[10:11], v[152:153], -v[199:200]
	v_add_f64 v[247:248], v[150:151], v[197:198]
	s_mov_b32 s40, 0x5d8e7cdc
	v_mul_f64 v[4:5], v[12:13], s[18:19]
	s_mov_b32 s8, 0x7faef3
	s_mov_b32 s41, 0x3fd71e95
	buffer_store_dword v241, off, s[64:67], 0 offset:304 ; 4-byte Folded Spill
	s_nop 0
	buffer_store_dword v242, off, s[64:67], 0 offset:308 ; 4-byte Folded Spill
	buffer_store_dword v243, off, s[64:67], 0 offset:312 ; 4-byte Folded Spill
	;; [unrolled: 1-line block ×3, first 2 shown]
	s_mov_b32 s9, 0xbfef7484
	v_add_f64 v[26:27], v[156:157], -v[203:204]
	v_mul_f64 v[8:9], v[10:11], s[40:41]
	v_add_f64 v[243:244], v[154:155], v[201:202]
	v_fma_f64 v[2:3], v[247:248], s[8:9], v[4:5]
	s_mov_b32 s24, 0x4363dd80
	s_mov_b32 s20, 0x370991
	;; [unrolled: 1-line block ×4, first 2 shown]
	v_add_f64 v[226:227], v[160:161], -v[214:215]
	v_mul_f64 v[18:19], v[26:27], s[24:25]
	v_add_f64 v[245:246], v[158:159], v[205:206]
	v_fma_f64 v[6:7], v[243:244], s[20:21], v[8:9]
	v_add_f64 v[2:3], v[146:147], v[2:3]
	s_mov_b32 s48, 0x2a9d6da3
	s_mov_b32 s10, 0x910ea3b9
	;; [unrolled: 1-line block ×4, first 2 shown]
	v_mul_f64 v[20:21], v[226:227], s[48:49]
	v_add_f64 v[241:242], v[162:163], v[216:217]
	v_fma_f64 v[22:23], v[245:246], s[10:11], v[18:19]
	v_add_f64 v[2:3], v[6:7], v[2:3]
	s_mov_b32 s26, 0x6c9a05f6
	buffer_store_dword v66, off, s[64:67], 0 offset:192 ; 4-byte Folded Spill
	s_nop 0
	buffer_store_dword v67, off, s[64:67], 0 offset:196 ; 4-byte Folded Spill
	buffer_store_dword v68, off, s[64:67], 0 offset:200 ; 4-byte Folded Spill
	;; [unrolled: 1-line block ×4, first 2 shown]
	s_nop 0
	buffer_store_dword v71, off, s[64:67], 0 offset:212 ; 4-byte Folded Spill
	buffer_store_dword v72, off, s[64:67], 0 offset:216 ; 4-byte Folded Spill
	;; [unrolled: 1-line block ×3, first 2 shown]
	s_mov_b32 s22, 0x75d4884
	v_add_f64 v[28:29], v[168:169], -v[188:189]
	s_mov_b32 s27, 0xbfe9895b
	v_mov_b32_e32 v68, v203
	buffer_store_dword v237, off, s[64:67], 0 offset:272 ; 4-byte Folded Spill
	s_nop 0
	buffer_store_dword v238, off, s[64:67], 0 offset:276 ; 4-byte Folded Spill
	buffer_store_dword v239, off, s[64:67], 0 offset:280 ; 4-byte Folded Spill
	;; [unrolled: 1-line block ×3, first 2 shown]
	s_mov_b32 s23, 0x3fe7a5f6
	v_mov_b32_e32 v69, v204
	v_mov_b32_e32 v70, v205
	;; [unrolled: 1-line block ×3, first 2 shown]
	v_fma_f64 v[6:7], v[241:242], s[22:23], v[20:21]
	v_add_f64 v[2:3], v[22:23], v[2:3]
	s_mov_b32 s44, 0x7c9e640b
	s_mov_b32 s16, 0x6ed5f1bb
	;; [unrolled: 1-line block ×3, first 2 shown]
	v_mov_b32_e32 v55, v29
	s_mov_b32 s17, 0xbfe348c8
	v_mul_f64 v[22:23], v[28:29], s[44:45]
	v_mov_b32_e32 v54, v28
	v_add_f64 v[237:238], v[170:171], v[190:191]
	v_add_f64 v[2:3], v[6:7], v[2:3]
	v_add_f64 v[28:29], v[150:151], -v[197:198]
	s_mov_b32 s36, 0x2b2883cd
	buffer_store_dword v233, off, s[64:67], 0 offset:248 ; 4-byte Folded Spill
	s_nop 0
	buffer_store_dword v234, off, s[64:67], 0 offset:252 ; 4-byte Folded Spill
	buffer_store_dword v235, off, s[64:67], 0 offset:256 ; 4-byte Folded Spill
	;; [unrolled: 1-line block ×5, first 2 shown]
	s_mov_b32 s37, 0x3fdc86fa
	buffer_store_dword v207, off, s[64:67], 0 offset:96 ; 4-byte Folded Spill
	s_nop 0
	buffer_store_dword v208, off, s[64:67], 0 offset:100 ; 4-byte Folded Spill
	buffer_store_dword v209, off, s[64:67], 0 offset:104 ; 4-byte Folded Spill
	;; [unrolled: 1-line block ×3, first 2 shown]
	v_fma_f64 v[6:7], v[237:238], s[36:37], v[22:23]
	v_add_f64 v[24:25], v[154:155], -v[201:202]
	v_mul_f64 v[208:209], v[28:29], s[18:19]
	buffer_store_dword v218, off, s[64:67], 0 offset:112 ; 4-byte Folded Spill
	s_nop 0
	buffer_store_dword v219, off, s[64:67], 0 offset:116 ; 4-byte Folded Spill
	buffer_store_dword v220, off, s[64:67], 0 offset:120 ; 4-byte Folded Spill
	;; [unrolled: 1-line block ×6, first 2 shown]
	v_mov_b32_e32 v72, v214
	v_mov_b32_e32 v74, v216
	;; [unrolled: 1-line block ×3, first 2 shown]
	v_mul_f64 v[210:211], v[24:25], s[40:41]
	v_mov_b32_e32 v73, v215
	v_fma_f64 v[214:215], v[247:248], s[8:9], -v[4:5]
	v_add_f64 v[206:207], v[162:163], -v[74:75]
	v_mov_b32_e32 v61, v25
	v_mov_b32_e32 v60, v24
	v_fma_f64 v[233:234], v[243:244], s[20:21], -v[8:9]
	v_fma_f64 v[18:19], v[245:246], s[10:11], -v[18:19]
	s_waitcnt vmcnt(41)
	v_add_f64 v[30:31], v[164:165], -v[76:77]
	s_waitcnt vmcnt(39)
	v_add_f64 v[239:240], v[166:167], v[78:79]
	v_add_f64 v[214:215], v[146:147], v[214:215]
	v_add_f64 v[66:67], v[166:167], -v[78:79]
	v_mul_f64 v[24:25], v[206:207], s[48:49]
	v_add_f64 v[52:53], v[172:173], -v[184:185]
	v_add_f64 v[64:65], v[174:175], -v[186:187]
	v_fma_f64 v[20:21], v[241:242], s[22:23], -v[20:21]
	v_mul_f64 v[204:205], v[30:31], s[26:27]
	s_mov_b32 s28, 0x923c349f
	v_add_f64 v[214:215], v[233:234], v[214:215]
	v_mul_f64 v[233:234], v[66:67], s[26:27]
	s_mov_b32 s29, 0xbfeec746
	v_add_f64 v[0:1], v[176:177], -v[180:181]
	v_mul_f64 v[216:217], v[52:53], s[28:29]
	v_add_f64 v[235:236], v[174:175], v[186:187]
	v_fma_f64 v[192:193], v[239:240], s[16:17], v[204:205]
	v_add_f64 v[253:254], v[178:179], -v[182:183]
	v_add_f64 v[18:19], v[18:19], v[214:215]
	v_add_f64 v[214:215], v[168:169], v[188:189]
	v_fma_f64 v[204:205], v[239:240], s[16:17], -v[204:205]
	s_mov_b32 s52, 0xeb564b22
	s_mov_b32 s30, 0xc61f0d01
	;; [unrolled: 1-line block ×3, first 2 shown]
	v_add_f64 v[2:3], v[192:193], v[2:3]
	v_add_f64 v[192:193], v[148:149], v[195:196]
	;; [unrolled: 1-line block ×3, first 2 shown]
	s_mov_b32 s31, 0xbfd183b1
	v_add_f64 v[229:230], v[178:179], v[182:183]
	v_mul_f64 v[16:17], v[0:1], s[52:53]
	v_fma_f64 v[218:219], v[235:236], s[30:31], v[216:217]
	v_fma_f64 v[22:23], v[237:238], s[36:37], -v[22:23]
	v_add_f64 v[220:221], v[6:7], v[2:3]
	v_add_f64 v[6:7], v[158:159], -v[70:71]
	v_add_f64 v[2:3], v[152:153], v[199:200]
	v_fma_f64 v[212:213], v[192:193], s[8:9], -v[208:209]
	buffer_store_dword v199, off, s[64:67], 0 offset:16 ; 4-byte Folded Spill
	s_nop 0
	buffer_store_dword v200, off, s[64:67], 0 offset:20 ; 4-byte Folded Spill
	buffer_store_dword v201, off, s[64:67], 0 offset:24 ; 4-byte Folded Spill
	;; [unrolled: 1-line block ×4, first 2 shown]
	s_nop 0
	buffer_store_dword v223, off, s[64:67], 0 offset:132 ; 4-byte Folded Spill
	buffer_store_dword v224, off, s[64:67], 0 offset:136 ; 4-byte Folded Spill
	;; [unrolled: 1-line block ×3, first 2 shown]
	v_add_f64 v[200:201], v[156:157], v[68:69]
	v_fma_f64 v[208:209], v[192:193], s[8:9], v[208:209]
	buffer_store_dword v249, off, s[64:67], 0 offset:344 ; 4-byte Folded Spill
	buffer_store_dword v250, off, s[64:67], 0 offset:352 ; 4-byte Folded Spill
	v_mul_f64 v[222:223], v[6:7], s[24:25]
	v_fma_f64 v[224:225], v[2:3], s[20:21], -v[210:211]
	v_add_f64 v[231:232], v[144:145], v[212:213]
	v_add_f64 v[212:213], v[160:161], v[72:73]
	v_add_f64 v[202:203], v[170:171], -v[190:191]
	v_mov_b32_e32 v199, v251
	v_add_f64 v[208:209], v[144:145], v[208:209]
	v_add_f64 v[18:19], v[204:205], v[18:19]
	v_fma_f64 v[249:250], v[200:201], s[10:11], -v[222:223]
	v_fma_f64 v[222:223], v[200:201], s[10:11], v[222:223]
	v_add_f64 v[224:225], v[224:225], v[231:232]
	v_fma_f64 v[231:232], v[2:3], s[20:21], v[210:211]
	v_add_f64 v[210:211], v[164:165], v[76:77]
	v_fma_f64 v[251:252], v[212:213], s[22:23], -v[24:25]
	v_fma_f64 v[20:21], v[212:213], s[22:23], v[24:25]
	v_add_f64 v[204:205], v[176:177], v[180:181]
	s_mov_b32 s34, 0x3259b75e
	s_mov_b32 s35, 0x3fb79ee6
	v_add_f64 v[224:225], v[249:250], v[224:225]
	v_add_f64 v[208:209], v[231:232], v[208:209]
	v_mul_f64 v[231:232], v[202:203], s[44:45]
	v_fma_f64 v[249:250], v[210:211], s[16:17], -v[233:234]
	v_add_f64 v[18:19], v[22:23], v[18:19]
	v_add_f64 v[218:219], v[218:219], v[220:221]
	v_fma_f64 v[216:217], v[235:236], s[30:31], -v[216:217]
	v_mov_b32_e32 v63, v7
	v_add_f64 v[224:225], v[251:252], v[224:225]
	v_add_f64 v[24:25], v[222:223], v[208:209]
	;; [unrolled: 1-line block ×3, first 2 shown]
	v_mul_f64 v[222:223], v[64:65], s[28:29]
	v_fma_f64 v[251:252], v[214:215], s[36:37], -v[231:232]
	v_fma_f64 v[22:23], v[214:215], s[36:37], v[231:232]
	v_fma_f64 v[231:232], v[229:230], s[34:35], v[16:17]
	v_mov_b32_e32 v62, v6
	v_add_f64 v[224:225], v[249:250], v[224:225]
	v_add_f64 v[20:21], v[20:21], v[24:25]
	v_mul_f64 v[24:25], v[253:254], s[52:53]
	v_fma_f64 v[249:250], v[208:209], s[30:31], -v[222:223]
	v_fma_f64 v[16:17], v[229:230], s[34:35], -v[16:17]
	v_add_f64 v[18:19], v[216:217], v[18:19]
	v_add_f64 v[6:7], v[231:232], v[218:219]
	v_fma_f64 v[233:234], v[210:211], s[16:17], v[233:234]
	v_add_f64 v[224:225], v[251:252], v[224:225]
	v_mov_b32_e32 v59, v29
	v_fma_f64 v[220:221], v[204:205], s[34:35], -v[24:25]
	v_mov_b32_e32 v58, v28
	v_mul_f64 v[231:232], v[10:11], s[44:45]
	v_mul_f64 v[251:252], v[58:59], s[24:25]
	v_mov_b32_e32 v57, v31
	v_add_f64 v[20:21], v[233:234], v[20:21]
	v_add_f64 v[224:225], v[249:250], v[224:225]
	s_mov_b32 s43, 0xbfefdd0d
	s_mov_b32 s42, s52
	v_mov_b32_e32 v56, v30
	v_mul_f64 v[28:29], v[26:27], s[42:43]
	v_fma_f64 v[30:31], v[243:244], s[36:37], v[231:232]
	v_fma_f64 v[42:43], v[192:193], s[10:11], v[251:252]
	s_mov_b32 s57, 0x3fe9895b
	v_add_f64 v[4:5], v[220:221], v[224:225]
	s_mov_b32 s56, s26
	v_mul_f64 v[249:250], v[226:227], s[56:57]
	v_fma_f64 v[231:232], v[243:244], s[36:37], -v[231:232]
	buffer_store_dword v4, off, s[64:67], 0 offset:360 ; 4-byte Folded Spill
	s_nop 0
	buffer_store_dword v5, off, s[64:67], 0 offset:364 ; 4-byte Folded Spill
	buffer_store_dword v6, off, s[64:67], 0 offset:368 ; 4-byte Folded Spill
	;; [unrolled: 1-line block ×3, first 2 shown]
	v_add_f64 v[6:7], v[16:17], v[18:19]
	v_fma_f64 v[16:17], v[204:205], s[34:35], v[24:25]
	v_mul_f64 v[24:25], v[12:13], s[24:25]
	buffer_store_dword v34, off, s[64:67], 0 offset:32 ; 4-byte Folded Spill
	s_nop 0
	buffer_store_dword v35, off, s[64:67], 0 offset:36 ; 4-byte Folded Spill
	buffer_store_dword v36, off, s[64:67], 0 offset:40 ; 4-byte Folded Spill
	;; [unrolled: 1-line block ×3, first 2 shown]
	v_mul_f64 v[34:35], v[60:61], s[44:45]
	buffer_store_dword v38, off, s[64:67], 0 offset:48 ; 4-byte Folded Spill
	s_nop 0
	buffer_store_dword v39, off, s[64:67], 0 offset:52 ; 4-byte Folded Spill
	buffer_store_dword v40, off, s[64:67], 0 offset:56 ; 4-byte Folded Spill
	;; [unrolled: 1-line block ×3, first 2 shown]
	v_fma_f64 v[36:37], v[192:193], s[10:11], -v[251:252]
	v_fma_f64 v[40:41], v[245:246], s[34:35], v[28:29]
	v_add_f64 v[42:43], v[144:145], v[42:43]
	s_mov_b32 s39, 0xbfd71e95
	v_fma_f64 v[233:234], v[247:248], s[10:11], v[24:25]
	v_fma_f64 v[24:25], v[247:248], s[10:11], -v[24:25]
	v_fma_f64 v[251:252], v[2:3], s[36:37], -v[34:35]
	v_fma_f64 v[34:35], v[2:3], s[36:37], v[34:35]
	s_mov_b32 s38, s40
	buffer_store_dword v44, off, s[64:67], 0 offset:64 ; 4-byte Folded Spill
	s_nop 0
	buffer_store_dword v45, off, s[64:67], 0 offset:68 ; 4-byte Folded Spill
	buffer_store_dword v46, off, s[64:67], 0 offset:72 ; 4-byte Folded Spill
	;; [unrolled: 1-line block ×3, first 2 shown]
	v_mul_f64 v[224:225], v[56:57], s[38:39]
	v_fma_f64 v[38:39], v[241:242], s[16:17], v[249:250]
	v_add_f64 v[233:234], v[146:147], v[233:234]
	v_add_f64 v[24:25], v[146:147], v[24:25]
	;; [unrolled: 1-line block ×3, first 2 shown]
	v_fma_f64 v[28:29], v[245:246], s[34:35], -v[28:29]
	v_add_f64 v[34:35], v[34:35], v[42:43]
	v_fma_f64 v[216:217], v[208:209], s[30:31], v[222:223]
	v_fma_f64 v[32:33], v[239:240], s[20:21], v[224:225]
	v_mul_f64 v[222:223], v[54:55], s[18:19]
	v_add_f64 v[30:31], v[30:31], v[233:234]
	v_mul_f64 v[233:234], v[62:63], s[42:43]
	v_add_f64 v[24:25], v[231:232], v[24:25]
	v_add_f64 v[36:37], v[251:252], v[36:37]
	v_add_f64 v[20:21], v[22:23], v[20:21]
	s_mov_b32 s55, 0x3feec746
	s_mov_b32 s54, s28
	v_mul_f64 v[218:219], v[52:53], s[48:49]
	v_add_f64 v[30:31], v[40:41], v[30:31]
	v_mul_f64 v[40:41], v[206:207], s[56:57]
	v_fma_f64 v[46:47], v[200:201], s[34:35], v[233:234]
	v_fma_f64 v[44:45], v[200:201], s[34:35], -v[233:234]
	v_add_f64 v[24:25], v[28:29], v[24:25]
	v_add_f64 v[18:19], v[216:217], v[20:21]
	v_fma_f64 v[220:221], v[237:238], s[8:9], v[222:223]
	v_mov_b32_e32 v9, v1
	v_add_f64 v[30:31], v[38:39], v[30:31]
	v_mul_f64 v[38:39], v[66:67], s[38:39]
	v_fma_f64 v[28:29], v[212:213], s[16:17], v[40:41]
	v_add_f64 v[34:35], v[46:47], v[34:35]
	v_fma_f64 v[42:43], v[212:213], s[16:17], -v[40:41]
	v_add_f64 v[36:37], v[44:45], v[36:37]
	v_fma_f64 v[44:45], v[241:242], s[16:17], -v[249:250]
	v_add_f64 v[4:5], v[16:17], v[18:19]
	v_add_f64 v[30:31], v[32:33], v[30:31]
	v_mul_f64 v[32:33], v[202:203], s[18:19]
	v_fma_f64 v[40:41], v[210:211], s[20:21], -v[38:39]
	v_fma_f64 v[38:39], v[210:211], s[20:21], v[38:39]
	v_add_f64 v[28:29], v[28:29], v[34:35]
	v_add_f64 v[36:37], v[42:43], v[36:37]
	v_fma_f64 v[42:43], v[239:240], s[20:21], -v[224:225]
	v_add_f64 v[24:25], v[44:45], v[24:25]
	v_mul_f64 v[34:35], v[64:65], s[48:49]
	v_fma_f64 v[44:45], v[214:215], s[8:9], -v[32:33]
	v_fma_f64 v[32:33], v[214:215], s[8:9], v[32:33]
	v_mov_b32_e32 v8, v0
	v_add_f64 v[28:29], v[38:39], v[28:29]
	v_add_f64 v[36:37], v[40:41], v[36:37]
	v_fma_f64 v[40:41], v[237:238], s[8:9], -v[222:223]
	v_add_f64 v[24:25], v[42:43], v[24:25]
	v_fma_f64 v[42:43], v[208:209], s[22:23], -v[34:35]
	v_fma_f64 v[34:35], v[208:209], s[22:23], v[34:35]
	v_mul_f64 v[222:223], v[60:61], s[54:55]
	buffer_store_dword v4, off, s[64:67], 0 offset:376 ; 4-byte Folded Spill
	s_nop 0
	buffer_store_dword v5, off, s[64:67], 0 offset:380 ; 4-byte Folded Spill
	buffer_store_dword v6, off, s[64:67], 0 offset:384 ; 4-byte Folded Spill
	;; [unrolled: 1-line block ×3, first 2 shown]
	v_add_f64 v[28:29], v[32:33], v[28:29]
	v_add_f64 v[36:37], v[44:45], v[36:37]
	buffer_store_dword v48, off, s[64:67], 0 offset:80 ; 4-byte Folded Spill
	s_nop 0
	buffer_store_dword v49, off, s[64:67], 0 offset:84 ; 4-byte Folded Spill
	buffer_store_dword v50, off, s[64:67], 0 offset:88 ; 4-byte Folded Spill
	buffer_store_dword v51, off, s[64:67], 0 offset:92 ; 4-byte Folded Spill
	v_add_f64 v[24:25], v[40:41], v[24:25]
	v_mul_f64 v[40:41], v[58:59], s[26:27]
	v_mul_f64 v[22:23], v[8:9], s[28:29]
	v_fma_f64 v[216:217], v[235:236], s[22:23], v[218:219]
	v_add_f64 v[30:31], v[220:221], v[30:31]
	v_add_f64 v[28:29], v[34:35], v[28:29]
	v_mul_f64 v[34:35], v[12:13], s[26:27]
	v_add_f64 v[18:19], v[42:43], v[36:37]
	v_mul_f64 v[42:43], v[10:11], s[54:55]
	v_fma_f64 v[224:225], v[192:193], s[16:17], -v[40:41]
	v_fma_f64 v[44:45], v[235:236], s[22:23], -v[218:219]
	v_mul_f64 v[218:219], v[26:27], s[38:39]
	v_mul_f64 v[251:252], v[62:63], s[38:39]
	v_fma_f64 v[48:49], v[2:3], s[30:31], -v[222:223]
	v_fma_f64 v[46:47], v[247:248], s[16:17], v[34:35]
	v_fma_f64 v[34:35], v[247:248], s[16:17], -v[34:35]
	v_fma_f64 v[231:232], v[243:244], s[30:31], v[42:43]
	v_add_f64 v[50:51], v[144:145], v[224:225]
	v_fma_f64 v[20:21], v[229:230], s[30:31], v[22:23]
	v_add_f64 v[30:31], v[216:217], v[30:31]
	v_mul_f64 v[38:39], v[253:254], s[28:29]
	v_mul_f64 v[233:234], v[226:227], s[24:25]
	v_add_f64 v[46:47], v[146:147], v[46:47]
	v_fma_f64 v[249:250], v[245:246], s[20:21], v[218:219]
	v_fma_f64 v[42:43], v[243:244], s[30:31], -v[42:43]
	v_add_f64 v[34:35], v[146:147], v[34:35]
	v_fma_f64 v[40:41], v[192:193], s[16:17], v[40:41]
	v_fma_f64 v[0:1], v[200:201], s[20:21], -v[251:252]
	v_add_f64 v[48:49], v[48:49], v[50:51]
	v_add_f64 v[6:7], v[20:21], v[30:31]
	;; [unrolled: 1-line block ×3, first 2 shown]
	v_mul_f64 v[231:232], v[206:207], s[24:25]
	v_fma_f64 v[16:17], v[204:205], s[30:31], -v[38:39]
	v_fma_f64 v[20:21], v[229:230], s[30:31], -v[22:23]
	v_add_f64 v[22:23], v[44:45], v[24:25]
	v_fma_f64 v[24:25], v[204:205], s[30:31], v[38:39]
	v_mul_f64 v[38:39], v[56:57], s[52:53]
	v_fma_f64 v[224:225], v[241:242], s[10:11], v[233:234]
	v_fma_f64 v[50:51], v[245:246], s[20:21], -v[218:219]
	v_add_f64 v[34:35], v[42:43], v[34:35]
	v_add_f64 v[42:43], v[249:250], v[46:47]
	v_mul_f64 v[46:47], v[66:67], s[52:53]
	v_fma_f64 v[218:219], v[2:3], s[30:31], v[222:223]
	v_add_f64 v[40:41], v[144:145], v[40:41]
	v_fma_f64 v[222:223], v[212:213], s[10:11], -v[231:232]
	v_add_f64 v[0:1], v[0:1], v[48:49]
	s_mov_b32 s47, 0xbfe58eea
	s_mov_b32 s46, s48
	v_mul_f64 v[36:37], v[54:55], s[46:47]
	v_fma_f64 v[220:221], v[239:240], s[34:35], v[38:39]
	v_fma_f64 v[48:49], v[241:242], s[10:11], -v[233:234]
	v_add_f64 v[34:35], v[50:51], v[34:35]
	v_add_f64 v[42:43], v[224:225], v[42:43]
	v_mul_f64 v[50:51], v[202:203], s[46:47]
	v_fma_f64 v[224:225], v[200:201], s[20:21], v[251:252]
	v_add_f64 v[40:41], v[218:219], v[40:41]
	v_fma_f64 v[218:219], v[210:211], s[34:35], -v[46:47]
	v_add_f64 v[0:1], v[222:223], v[0:1]
	v_mul_f64 v[32:33], v[52:53], s[18:19]
	v_fma_f64 v[216:217], v[237:238], s[22:23], v[36:37]
	v_fma_f64 v[38:39], v[239:240], s[34:35], -v[38:39]
	v_add_f64 v[34:35], v[48:49], v[34:35]
	v_add_f64 v[42:43], v[220:221], v[42:43]
	v_mul_f64 v[48:49], v[64:65], s[18:19]
	v_fma_f64 v[220:221], v[212:213], s[10:11], v[231:232]
	v_add_f64 v[40:41], v[224:225], v[40:41]
	v_fma_f64 v[222:223], v[214:215], s[22:23], -v[50:51]
	v_add_f64 v[0:1], v[218:219], v[0:1]
	v_add_f64 v[4:5], v[16:17], v[18:19]
	v_mul_f64 v[30:31], v[8:9], s[44:45]
	v_fma_f64 v[44:45], v[235:236], s[8:9], v[32:33]
	v_fma_f64 v[36:37], v[237:238], s[22:23], -v[36:37]
	v_add_f64 v[34:35], v[38:39], v[34:35]
	v_add_f64 v[38:39], v[216:217], v[42:43]
	v_mul_f64 v[42:43], v[253:254], s[44:45]
	v_fma_f64 v[46:47], v[210:211], s[34:35], v[46:47]
	v_add_f64 v[40:41], v[220:221], v[40:41]
	v_fma_f64 v[216:217], v[208:209], s[8:9], -v[48:49]
	v_add_f64 v[0:1], v[222:223], v[0:1]
	buffer_store_dword v4, off, s[64:67], 0 offset:392 ; 4-byte Folded Spill
	s_nop 0
	buffer_store_dword v5, off, s[64:67], 0 offset:396 ; 4-byte Folded Spill
	buffer_store_dword v6, off, s[64:67], 0 offset:400 ; 4-byte Folded Spill
	;; [unrolled: 1-line block ×3, first 2 shown]
	v_add_f64 v[6:7], v[20:21], v[22:23]
	v_add_f64 v[4:5], v[24:25], v[28:29]
	;; [unrolled: 1-line block ×3, first 2 shown]
	v_fma_f64 v[36:37], v[229:230], s[36:37], v[30:31]
	v_add_f64 v[38:39], v[44:45], v[38:39]
	v_add_f64 v[40:41], v[46:47], v[40:41]
	v_fma_f64 v[46:47], v[204:205], s[36:37], -v[42:43]
	v_add_f64 v[0:1], v[216:217], v[0:1]
	v_fma_f64 v[32:33], v[235:236], s[8:9], -v[32:33]
	buffer_store_dword v4, off, s[64:67], 0 offset:424 ; 4-byte Folded Spill
	s_nop 0
	buffer_store_dword v5, off, s[64:67], 0 offset:428 ; 4-byte Folded Spill
	buffer_store_dword v6, off, s[64:67], 0 offset:432 ; 4-byte Folded Spill
	;; [unrolled: 1-line block ×3, first 2 shown]
	v_fma_f64 v[30:31], v[229:230], s[36:37], -v[30:31]
	v_mul_f64 v[22:23], v[12:13], s[28:29]
	v_add_f64 v[6:7], v[36:37], v[38:39]
	v_mul_f64 v[24:25], v[58:59], s[28:29]
	s_mov_b32 s59, 0x3fe0d888
	v_add_f64 v[4:5], v[46:47], v[0:1]
	v_add_f64 v[32:33], v[32:33], v[34:35]
	buffer_store_dword v4, off, s[64:67], 0 offset:408 ; 4-byte Folded Spill
	s_nop 0
	buffer_store_dword v5, off, s[64:67], 0 offset:412 ; 4-byte Folded Spill
	buffer_store_dword v6, off, s[64:67], 0 offset:416 ; 4-byte Folded Spill
	;; [unrolled: 1-line block ×3, first 2 shown]
	s_mov_b32 s58, s24
	v_fma_f64 v[44:45], v[214:215], s[22:23], v[50:51]
	v_add_f64 v[6:7], v[30:31], v[32:33]
	v_mul_f64 v[28:29], v[10:11], s[58:59]
	v_fma_f64 v[32:33], v[247:248], s[30:31], v[22:23]
	v_mul_f64 v[34:35], v[60:61], s[58:59]
	v_fma_f64 v[36:37], v[192:193], s[30:31], -v[24:25]
	v_fma_f64 v[0:1], v[204:205], s[36:37], v[42:43]
	v_mul_f64 v[38:39], v[26:27], s[48:49]
	v_add_f64 v[18:19], v[44:45], v[40:41]
	v_fma_f64 v[22:23], v[247:248], s[30:31], -v[22:23]
	v_fma_f64 v[40:41], v[243:244], s[10:11], v[28:29]
	v_add_f64 v[32:33], v[146:147], v[32:33]
	v_mul_f64 v[42:43], v[62:63], s[48:49]
	v_fma_f64 v[44:45], v[2:3], s[10:11], -v[34:35]
	v_add_f64 v[36:37], v[144:145], v[36:37]
	v_fma_f64 v[16:17], v[208:209], s[8:9], v[48:49]
	s_mov_b32 s51, 0xbfeca52d
	s_mov_b32 s50, s44
	v_mul_f64 v[46:47], v[226:227], s[50:51]
	v_fma_f64 v[48:49], v[245:246], s[22:23], v[38:39]
	v_fma_f64 v[28:29], v[243:244], s[10:11], -v[28:29]
	v_add_f64 v[22:23], v[146:147], v[22:23]
	v_add_f64 v[32:33], v[40:41], v[32:33]
	v_mul_f64 v[40:41], v[206:207], s[50:51]
	v_fma_f64 v[50:51], v[200:201], s[22:23], -v[42:43]
	v_add_f64 v[36:37], v[44:45], v[36:37]
	v_mov_b32_e32 v221, v9
	v_add_f64 v[16:17], v[16:17], v[18:19]
	v_mul_f64 v[18:19], v[8:9], s[26:27]
	v_mov_b32_e32 v220, v8
	v_mov_b32_e32 v8, v56
	;; [unrolled: 1-line block ×3, first 2 shown]
	v_mul_f64 v[44:45], v[8:9], s[18:19]
	v_fma_f64 v[216:217], v[241:242], s[36:37], v[46:47]
	v_fma_f64 v[38:39], v[245:246], s[22:23], -v[38:39]
	v_add_f64 v[22:23], v[28:29], v[22:23]
	v_add_f64 v[28:29], v[48:49], v[32:33]
	v_mul_f64 v[32:33], v[66:67], s[18:19]
	v_fma_f64 v[48:49], v[212:213], s[36:37], -v[40:41]
	v_add_f64 v[36:37], v[50:51], v[36:37]
	v_mul_f64 v[50:51], v[54:55], s[52:53]
	v_fma_f64 v[218:219], v[239:240], s[8:9], v[44:45]
	v_fma_f64 v[46:47], v[241:242], s[36:37], -v[46:47]
	v_add_f64 v[22:23], v[38:39], v[22:23]
	v_add_f64 v[28:29], v[216:217], v[28:29]
	v_mul_f64 v[38:39], v[202:203], s[52:53]
	v_fma_f64 v[216:217], v[210:211], s[8:9], -v[32:33]
	v_add_f64 v[36:37], v[48:49], v[36:37]
	v_mul_f64 v[20:21], v[52:53], s[38:39]
	v_fma_f64 v[48:49], v[237:238], s[34:35], v[50:51]
	v_fma_f64 v[44:45], v[239:240], s[8:9], -v[44:45]
	v_fma_f64 v[24:25], v[192:193], s[30:31], v[24:25]
	v_add_f64 v[22:23], v[46:47], v[22:23]
	v_add_f64 v[28:29], v[218:219], v[28:29]
	v_mul_f64 v[46:47], v[64:65], s[38:39]
	v_fma_f64 v[218:219], v[214:215], s[34:35], -v[38:39]
	v_add_f64 v[36:37], v[216:217], v[36:37]
	v_fma_f64 v[30:31], v[235:236], s[20:21], v[20:21]
	v_fma_f64 v[34:35], v[2:3], s[10:11], v[34:35]
	v_add_f64 v[24:25], v[144:145], v[24:25]
	v_add_f64 v[22:23], v[44:45], v[22:23]
	;; [unrolled: 1-line block ×3, first 2 shown]
	v_mul_f64 v[44:45], v[253:254], s[26:27]
	v_fma_f64 v[48:49], v[208:209], s[20:21], -v[46:47]
	v_add_f64 v[36:37], v[218:219], v[36:37]
	v_fma_f64 v[50:51], v[237:238], s[34:35], -v[50:51]
	v_add_f64 v[4:5], v[0:1], v[16:17]
	v_add_f64 v[24:25], v[34:35], v[24:25]
	v_fma_f64 v[34:35], v[229:230], s[16:17], v[18:19]
	v_add_f64 v[28:29], v[30:31], v[28:29]
	v_fma_f64 v[30:31], v[204:205], s[16:17], -v[44:45]
	v_fma_f64 v[20:21], v[235:236], s[20:21], -v[20:21]
	v_add_f64 v[36:37], v[48:49], v[36:37]
	v_fma_f64 v[42:43], v[200:201], s[22:23], v[42:43]
	v_add_f64 v[22:23], v[50:51], v[22:23]
	buffer_store_dword v4, off, s[64:67], 0 offset:456 ; 4-byte Folded Spill
	s_nop 0
	buffer_store_dword v5, off, s[64:67], 0 offset:460 ; 4-byte Folded Spill
	buffer_store_dword v6, off, s[64:67], 0 offset:464 ; 4-byte Folded Spill
	;; [unrolled: 1-line block ×3, first 2 shown]
	v_fma_f64 v[18:19], v[229:230], s[16:17], -v[18:19]
	v_add_f64 v[6:7], v[34:35], v[28:29]
	v_fma_f64 v[40:41], v[212:213], s[36:37], v[40:41]
	v_mul_f64 v[0:1], v[12:13], s[42:43]
	v_add_f64 v[4:5], v[30:31], v[36:37]
	v_add_f64 v[24:25], v[42:43], v[24:25]
	;; [unrolled: 1-line block ×3, first 2 shown]
	v_mul_f64 v[22:23], v[58:59], s[42:43]
	buffer_store_dword v4, off, s[64:67], 0 offset:440 ; 4-byte Folded Spill
	s_nop 0
	buffer_store_dword v5, off, s[64:67], 0 offset:444 ; 4-byte Folded Spill
	buffer_store_dword v6, off, s[64:67], 0 offset:448 ; 4-byte Folded Spill
	;; [unrolled: 1-line block ×3, first 2 shown]
	v_fma_f64 v[16:17], v[210:211], s[8:9], v[32:33]
	v_add_f64 v[24:25], v[40:41], v[24:25]
	v_add_f64 v[6:7], v[18:19], v[20:21]
	v_mul_f64 v[20:21], v[10:11], s[18:19]
	v_fma_f64 v[28:29], v[247:248], s[34:35], v[0:1]
	v_mul_f64 v[32:33], v[60:61], s[18:19]
	v_fma_f64 v[34:35], v[192:193], s[34:35], -v[22:23]
	v_fma_f64 v[30:31], v[214:215], s[34:35], v[38:39]
	v_mul_f64 v[36:37], v[26:27], s[54:55]
	v_add_f64 v[16:17], v[16:17], v[24:25]
	v_mul_f64 v[40:41], v[62:63], s[54:55]
	v_fma_f64 v[38:39], v[243:244], s[8:9], v[20:21]
	v_add_f64 v[28:29], v[146:147], v[28:29]
	v_fma_f64 v[42:43], v[2:3], s[8:9], -v[32:33]
	v_add_f64 v[34:35], v[144:145], v[34:35]
	v_fma_f64 v[18:19], v[204:205], s[16:17], v[44:45]
	v_fma_f64 v[24:25], v[208:209], s[20:21], v[46:47]
	v_add_f64 v[16:17], v[30:31], v[16:17]
	v_fma_f64 v[0:1], v[247:248], s[34:35], -v[0:1]
	v_mul_f64 v[30:31], v[226:227], s[40:41]
	v_fma_f64 v[44:45], v[245:246], s[30:31], v[36:37]
	v_add_f64 v[28:29], v[38:39], v[28:29]
	v_mul_f64 v[38:39], v[206:207], s[40:41]
	v_fma_f64 v[46:47], v[200:201], s[30:31], -v[40:41]
	v_add_f64 v[34:35], v[42:43], v[34:35]
	v_fma_f64 v[20:21], v[243:244], s[8:9], -v[20:21]
	v_add_f64 v[0:1], v[146:147], v[0:1]
	v_mul_f64 v[42:43], v[8:9], s[50:51]
	v_fma_f64 v[48:49], v[241:242], s[20:21], v[30:31]
	v_add_f64 v[28:29], v[44:45], v[28:29]
	v_mul_f64 v[44:45], v[66:67], s[50:51]
	v_fma_f64 v[50:51], v[212:213], s[20:21], -v[38:39]
	v_add_f64 v[34:35], v[46:47], v[34:35]
	v_fma_f64 v[36:37], v[245:246], s[30:31], -v[36:37]
	v_add_f64 v[0:1], v[20:21], v[0:1]
	;; [unrolled: 8-line block ×3, first 2 shown]
	v_mul_f64 v[36:37], v[52:53], s[56:57]
	v_fma_f64 v[50:51], v[237:238], s[10:11], v[20:21]
	v_add_f64 v[28:29], v[46:47], v[28:29]
	v_mul_f64 v[46:47], v[64:65], s[56:57]
	v_fma_f64 v[218:219], v[214:215], s[10:11], -v[48:49]
	v_add_f64 v[34:35], v[216:217], v[34:35]
	v_mov_b32_e32 v223, v63
	v_mov_b32_e32 v222, v62
	;; [unrolled: 1-line block ×6, first 2 shown]
	v_add_f64 v[16:17], v[24:25], v[16:17]
	v_fma_f64 v[42:43], v[239:240], s[36:37], -v[42:43]
	v_add_f64 v[0:1], v[30:31], v[0:1]
	v_mul_f64 v[30:31], v[54:55], s[48:49]
	v_fma_f64 v[216:217], v[235:236], s[16:17], v[36:37]
	v_add_f64 v[28:29], v[50:51], v[28:29]
	v_mul_f64 v[50:51], v[253:254], s[48:49]
	v_fma_f64 v[220:221], v[208:209], s[16:17], -v[46:47]
	v_add_f64 v[34:35], v[218:219], v[34:35]
	v_add_f64 v[4:5], v[18:19], v[16:17]
	;; [unrolled: 1-line block ×3, first 2 shown]
	v_fma_f64 v[24:25], v[229:230], s[22:23], v[30:31]
	buffer_store_dword v4, off, s[64:67], 0 offset:488 ; 4-byte Folded Spill
	s_nop 0
	buffer_store_dword v5, off, s[64:67], 0 offset:492 ; 4-byte Folded Spill
	buffer_store_dword v6, off, s[64:67], 0 offset:496 ; 4-byte Folded Spill
	;; [unrolled: 1-line block ×3, first 2 shown]
	v_add_f64 v[28:29], v[216:217], v[28:29]
	v_fma_f64 v[42:43], v[204:205], s[22:23], -v[50:51]
	v_add_f64 v[34:35], v[220:221], v[34:35]
	v_mov_b32_e32 v56, v222
	v_mov_b32_e32 v57, v223
	v_fma_f64 v[20:21], v[237:238], s[10:11], -v[20:21]
	v_fma_f64 v[22:23], v[192:193], s[34:35], v[22:23]
	v_mul_f64 v[18:19], v[12:13], s[50:51]
	v_add_f64 v[6:7], v[24:25], v[28:29]
	v_fma_f64 v[36:37], v[235:236], s[16:17], -v[36:37]
	v_add_f64 v[4:5], v[42:43], v[34:35]
	buffer_store_dword v4, off, s[64:67], 0 offset:472 ; 4-byte Folded Spill
	s_nop 0
	buffer_store_dword v5, off, s[64:67], 0 offset:476 ; 4-byte Folded Spill
	buffer_store_dword v6, off, s[64:67], 0 offset:480 ; 4-byte Folded Spill
	buffer_store_dword v7, off, s[64:67], 0 offset:484 ; 4-byte Folded Spill
	buffer_store_dword v58, off, s[64:67], 0 offset:504 ; 4-byte Folded Spill
	s_nop 0
	buffer_store_dword v59, off, s[64:67], 0 offset:508 ; 4-byte Folded Spill
	v_mov_b32_e32 v4, v60
	v_mov_b32_e32 v5, v61
	buffer_store_dword v4, off, s[64:67], 0 offset:520 ; 4-byte Folded Spill
	s_nop 0
	buffer_store_dword v5, off, s[64:67], 0 offset:524 ; 4-byte Folded Spill
	buffer_store_dword v56, off, s[64:67], 0 offset:536 ; 4-byte Folded Spill
	s_nop 0
	buffer_store_dword v57, off, s[64:67], 0 offset:540 ; 4-byte Folded Spill
	v_add_f64 v[0:1], v[20:21], v[0:1]
	v_fma_f64 v[16:17], v[2:3], s[8:9], v[32:33]
	v_add_f64 v[20:21], v[144:145], v[22:23]
	v_fma_f64 v[22:23], v[229:230], s[22:23], -v[30:31]
	v_mul_f64 v[28:29], v[10:11], s[26:27]
	v_fma_f64 v[30:31], v[247:248], s[36:37], v[18:19]
	s_mov_b32 s53, 0x3fc7851a
	s_mov_b32 s52, s18
	v_add_f64 v[0:1], v[36:37], v[0:1]
	v_fma_f64 v[24:25], v[200:201], s[30:31], v[40:41]
	v_add_f64 v[16:17], v[16:17], v[20:21]
	v_mul_f64 v[34:35], v[26:27], s[52:53]
	v_fma_f64 v[36:37], v[243:244], s[16:17], v[28:29]
	v_add_f64 v[30:31], v[146:147], v[30:31]
	v_fma_f64 v[20:21], v[212:213], s[20:21], v[38:39]
	v_fma_f64 v[38:39], v[210:211], s[36:37], v[44:45]
	v_mul_f64 v[44:45], v[226:227], s[54:55]
	v_mul_f64 v[216:217], v[8:9], s[48:49]
	v_add_f64 v[16:17], v[24:25], v[16:17]
	v_fma_f64 v[24:25], v[204:205], s[22:23], v[50:51]
	v_fma_f64 v[50:51], v[245:246], s[8:9], v[34:35]
	v_add_f64 v[30:31], v[36:37], v[30:31]
	v_fma_f64 v[18:19], v[247:248], s[36:37], -v[18:19]
	v_fma_f64 v[28:29], v[243:244], s[16:17], -v[28:29]
	v_fma_f64 v[218:219], v[241:242], s[30:31], v[44:45]
	v_fma_f64 v[220:221], v[239:240], s[22:23], v[216:217]
	v_add_f64 v[16:17], v[20:21], v[16:17]
	v_fma_f64 v[20:21], v[214:215], s[10:11], v[48:49]
	v_mov_b32_e32 v61, v55
	v_add_f64 v[30:31], v[50:51], v[30:31]
	v_add_f64 v[18:19], v[146:147], v[18:19]
	v_mov_b32_e32 v60, v54
	v_fma_f64 v[34:35], v[245:246], s[8:9], -v[34:35]
	v_fma_f64 v[44:45], v[241:242], s[30:31], -v[44:45]
	v_add_f64 v[16:17], v[38:39], v[16:17]
	v_fma_f64 v[38:39], v[208:209], s[16:17], v[46:47]
	v_mul_f64 v[46:47], v[206:207], s[54:55]
	v_add_f64 v[30:31], v[218:219], v[30:31]
	v_add_f64 v[18:19], v[28:29], v[18:19]
	v_mov_b32_e32 v6, v52
	v_mov_b32_e32 v7, v53
	v_add_f64 v[16:17], v[20:21], v[16:17]
	v_mul_f64 v[20:21], v[66:67], s[48:49]
	v_fma_f64 v[218:219], v[212:213], s[30:31], -v[46:47]
	v_add_f64 v[30:31], v[220:221], v[30:31]
	v_mul_f64 v[220:221], v[202:203], s[38:39]
	v_add_f64 v[34:35], v[34:35], v[18:19]
	v_add_f64 v[18:19], v[22:23], v[0:1]
	v_fma_f64 v[0:1], v[239:240], s[22:23], -v[216:217]
	v_add_f64 v[16:17], v[38:39], v[16:17]
	v_fma_f64 v[224:225], v[210:211], s[22:23], -v[20:21]
	v_fma_f64 v[46:47], v[212:213], s[30:31], v[46:47]
	v_fma_f64 v[20:21], v[210:211], s[22:23], v[20:21]
	v_fma_f64 v[28:29], v[214:215], s[20:21], -v[220:221]
	v_add_f64 v[16:17], v[24:25], v[16:17]
	v_mul_f64 v[24:25], v[12:13], s[46:47]
	v_mul_f64 v[12:13], v[12:13], s[38:39]
	v_mul_f64 v[32:33], v[58:59], s[50:51]
	v_mul_f64 v[40:41], v[4:5], s[26:27]
	v_mul_f64 v[36:37], v[56:57], s[52:53]
	v_mul_f64 v[249:250], v[56:57], s[26:27]
	v_mul_f64 v[56:57], v[202:203], s[54:55]
	v_fma_f64 v[42:43], v[192:193], s[36:37], -v[32:33]
	v_fma_f64 v[32:33], v[192:193], s[36:37], v[32:33]
	v_fma_f64 v[48:49], v[2:3], s[16:17], -v[40:41]
	v_fma_f64 v[50:51], v[200:201], s[8:9], -v[36:37]
	v_fma_f64 v[40:41], v[2:3], s[16:17], v[40:41]
	v_fma_f64 v[36:37], v[200:201], s[8:9], v[36:37]
	v_add_f64 v[42:43], v[144:145], v[42:43]
	v_add_f64 v[32:33], v[144:145], v[32:33]
	;; [unrolled: 1-line block ×3, first 2 shown]
	v_mul_f64 v[48:49], v[62:63], s[38:39]
	v_add_f64 v[32:33], v[40:41], v[32:33]
	v_mul_f64 v[40:41], v[226:227], s[18:19]
	v_add_f64 v[42:43], v[50:51], v[42:43]
	v_mul_f64 v[50:51], v[52:53], s[42:43]
	v_fma_f64 v[222:223], v[237:238], s[20:21], v[48:49]
	v_add_f64 v[32:33], v[36:37], v[32:33]
	v_mul_f64 v[36:37], v[8:9], s[58:59]
	v_fma_f64 v[251:252], v[241:242], s[8:9], v[40:41]
	v_fma_f64 v[52:53], v[200:201], s[16:17], -v[249:250]
	v_fma_f64 v[40:41], v[241:242], s[8:9], -v[40:41]
	v_add_f64 v[42:43], v[218:219], v[42:43]
	v_mul_f64 v[218:219], v[60:61], s[24:25]
	v_fma_f64 v[231:232], v[235:236], s[34:35], v[50:51]
	v_add_f64 v[30:31], v[222:223], v[30:31]
	v_mul_f64 v[222:223], v[64:65], s[42:43]
	v_add_f64 v[32:33], v[46:47], v[32:33]
	v_mul_f64 v[46:47], v[62:63], s[54:55]
	v_add_f64 v[42:43], v[224:225], v[42:43]
	v_fma_f64 v[38:39], v[229:230], s[10:11], v[218:219]
	v_mul_f64 v[224:225], v[253:254], s[24:25]
	v_add_f64 v[30:31], v[231:232], v[30:31]
	v_fma_f64 v[231:232], v[208:209], s[34:35], -v[222:223]
	v_add_f64 v[20:21], v[20:21], v[32:33]
	v_mul_f64 v[32:33], v[6:7], s[44:45]
	v_add_f64 v[28:29], v[28:29], v[42:43]
	v_fma_f64 v[42:43], v[237:238], s[20:21], -v[48:49]
	v_fma_f64 v[48:49], v[247:248], s[22:23], v[24:25]
	v_add_f64 v[22:23], v[38:39], v[30:31]
	v_add_f64 v[30:31], v[44:45], v[34:35]
	v_mul_f64 v[44:45], v[10:11], s[42:43]
	v_fma_f64 v[38:39], v[229:230], s[10:11], -v[218:219]
	v_fma_f64 v[24:25], v[247:248], s[22:23], -v[24:25]
	v_add_f64 v[28:29], v[231:232], v[28:29]
	v_mul_f64 v[231:232], v[26:27], s[26:27]
	v_add_f64 v[48:49], v[146:147], v[48:49]
	v_fma_f64 v[34:35], v[204:205], s[10:11], -v[224:225]
	v_add_f64 v[0:1], v[0:1], v[30:31]
	v_fma_f64 v[30:31], v[235:236], s[34:35], -v[50:51]
	v_mul_f64 v[50:51], v[58:59], s[46:47]
	v_fma_f64 v[216:217], v[243:244], s[34:35], v[44:45]
	v_add_f64 v[24:25], v[146:147], v[24:25]
	v_fma_f64 v[233:234], v[245:246], s[16:17], v[231:232]
	v_mul_f64 v[26:27], v[26:27], s[50:51]
	v_add_f64 v[0:1], v[42:43], v[0:1]
	v_mul_f64 v[42:43], v[4:5], s[42:43]
	v_fma_f64 v[218:219], v[192:193], s[22:23], -v[50:51]
	v_add_f64 v[48:49], v[216:217], v[48:49]
	v_mov_b32_e32 v4, v60
	v_mov_b32_e32 v5, v61
	v_add_f64 v[0:1], v[30:31], v[0:1]
	v_fma_f64 v[216:217], v[2:3], s[34:35], -v[42:43]
	v_add_f64 v[218:219], v[144:145], v[218:219]
	v_add_f64 v[48:49], v[233:234], v[48:49]
	v_mul_f64 v[233:234], v[206:207], s[18:19]
	v_fma_f64 v[42:43], v[2:3], s[34:35], v[42:43]
	v_mul_f64 v[30:31], v[64:65], s[44:45]
	v_add_f64 v[54:55], v[216:217], v[218:219]
	v_fma_f64 v[216:217], v[239:240], s[10:11], v[36:37]
	v_add_f64 v[48:49], v[251:252], v[48:49]
	v_fma_f64 v[218:219], v[214:215], s[20:21], v[220:221]
	v_fma_f64 v[251:252], v[212:213], s[8:9], -v[233:234]
	v_mul_f64 v[220:221], v[66:67], s[58:59]
	v_fma_f64 v[36:37], v[239:240], s[10:11], -v[36:37]
	v_add_f64 v[52:53], v[52:53], v[54:55]
	v_fma_f64 v[54:55], v[237:238], s[30:31], v[46:47]
	v_add_f64 v[48:49], v[216:217], v[48:49]
	v_add_f64 v[20:21], v[218:219], v[20:21]
	v_fma_f64 v[218:219], v[235:236], s[36:37], v[32:33]
	v_fma_f64 v[216:217], v[208:209], s[34:35], v[222:223]
	v_fma_f64 v[58:59], v[210:211], s[10:11], -v[220:221]
	v_fma_f64 v[32:33], v[235:236], s[36:37], -v[32:33]
	v_add_f64 v[52:53], v[251:252], v[52:53]
	v_mul_f64 v[251:252], v[60:61], s[40:41]
	v_add_f64 v[48:49], v[54:55], v[48:49]
	v_fma_f64 v[54:55], v[214:215], s[30:31], -v[56:57]
	v_fma_f64 v[60:61], v[208:209], s[36:37], -v[30:31]
	v_add_f64 v[216:217], v[216:217], v[20:21]
	v_add_f64 v[20:21], v[34:35], v[28:29]
	v_fma_f64 v[30:31], v[208:209], s[36:37], v[30:31]
	v_add_f64 v[52:53], v[58:59], v[52:53]
	v_fma_f64 v[222:223], v[229:230], s[20:21], v[251:252]
	v_add_f64 v[48:49], v[218:219], v[48:49]
	v_add_f64 v[218:219], v[38:39], v[0:1]
	v_fma_f64 v[0:1], v[243:244], s[34:35], -v[44:45]
	v_fma_f64 v[44:45], v[192:193], s[22:23], v[50:51]
	v_add_f64 v[50:51], v[146:147], v[150:151]
	v_fma_f64 v[58:59], v[204:205], s[10:11], v[224:225]
	v_add_f64 v[52:53], v[54:55], v[52:53]
	;; [unrolled: 2-line block ×3, first 2 shown]
	v_fma_f64 v[48:49], v[245:246], s[16:17], -v[231:232]
	v_add_f64 v[0:1], v[0:1], v[24:25]
	v_add_f64 v[44:45], v[144:145], v[44:45]
	v_fma_f64 v[24:25], v[237:238], s[30:31], -v[46:47]
	v_mul_f64 v[46:47], v[10:11], s[46:47]
	v_fma_f64 v[10:11], v[247:248], s[20:21], v[12:13]
	v_add_f64 v[34:35], v[60:61], v[52:53]
	v_add_f64 v[52:53], v[144:145], v[148:149]
	;; [unrolled: 1-line block ×4, first 2 shown]
	v_fma_f64 v[48:49], v[200:201], s[16:17], v[249:250]
	v_add_f64 v[42:43], v[42:43], v[44:45]
	v_fma_f64 v[44:45], v[243:244], s[22:23], v[46:47]
	v_add_f64 v[10:11], v[146:147], v[10:11]
	buffer_load_dword v250, off, s[64:67], 0 offset:352 ; 4-byte Folded Reload
	buffer_load_dword v249, off, s[64:67], 0 offset:344 ; 4-byte Folded Reload
	v_add_f64 v[52:53], v[52:53], v[152:153]
	v_add_f64 v[216:217], v[58:59], v[216:217]
	;; [unrolled: 1-line block ×3, first 2 shown]
	v_fma_f64 v[40:41], v[212:213], s[8:9], v[233:234]
	v_add_f64 v[42:43], v[48:49], v[42:43]
	v_mul_f64 v[48:49], v[226:227], s[42:43]
	v_add_f64 v[10:11], v[44:45], v[10:11]
	v_add_f64 v[44:45], v[50:51], v[158:159]
	;; [unrolled: 1-line block ×3, first 2 shown]
	buffer_load_dword v227, off, s[64:67], 0 offset:336 ; 4-byte Folded Reload
	buffer_load_dword v226, off, s[64:67], 0 offset:296 ; 4-byte Folded Reload
	v_add_f64 v[0:1], v[36:37], v[0:1]
	v_fma_f64 v[36:37], v[210:211], s[10:11], v[220:221]
	v_add_f64 v[40:41], v[40:41], v[42:43]
	v_mul_f64 v[42:43], v[8:9], s[28:29]
	v_fma_f64 v[52:53], v[241:242], s[34:35], v[48:49]
	v_add_f64 v[10:11], v[54:55], v[10:11]
	v_add_f64 v[44:45], v[44:45], v[162:163]
	;; [unrolled: 1-line block ×4, first 2 shown]
	v_fma_f64 v[24:25], v[214:215], s[30:31], v[56:57]
	v_add_f64 v[36:37], v[36:37], v[40:41]
	v_fma_f64 v[54:55], v[239:240], s[30:31], v[42:43]
	v_mul_f64 v[40:41], v[62:63], s[26:27]
	v_add_f64 v[10:11], v[52:53], v[10:11]
	v_fma_f64 v[38:39], v[229:230], s[20:21], -v[251:252]
	v_fma_f64 v[12:13], v[247:248], s[20:21], -v[12:13]
	v_add_f64 v[0:1], v[32:33], v[0:1]
	v_add_f64 v[32:33], v[44:45], v[166:167]
	;; [unrolled: 1-line block ×4, first 2 shown]
	v_fma_f64 v[46:47], v[243:244], s[22:23], -v[46:47]
	v_add_f64 v[52:53], v[54:55], v[10:11]
	v_mul_f64 v[54:55], v[64:65], s[24:25]
	v_add_f64 v[12:13], v[146:147], v[12:13]
	v_add_f64 v[10:11], v[38:39], v[0:1]
	;; [unrolled: 1-line block ×4, first 2 shown]
	v_mul_f64 v[30:31], v[4:5], s[18:19]
	buffer_load_dword v4, off, s[64:67], 0 offset:504 ; 4-byte Folded Reload
	buffer_load_dword v5, off, s[64:67], 0 offset:508 ; 4-byte Folded Reload
	buffer_load_dword v65, off, s[64:67], 0 offset:184 ; 4-byte Folded Reload
	buffer_load_dword v64, off, s[64:67], 0 offset:176 ; 4-byte Folded Reload
	buffer_load_dword v58, off, s[64:67], 0 offset:520 ; 4-byte Folded Reload
	buffer_load_dword v59, off, s[64:67], 0 offset:524 ; 4-byte Folded Reload
	buffer_load_dword v62, off, s[64:67], 0 offset:536 ; 4-byte Folded Reload
	buffer_load_dword v63, off, s[64:67], 0 offset:540 ; 4-byte Folded Reload
	v_add_f64 v[32:33], v[44:45], v[168:169]
	v_add_f64 v[0:1], v[0:1], v[174:175]
	v_fma_f64 v[26:27], v[245:246], s[36:37], -v[26:27]
	v_add_f64 v[12:13], v[46:47], v[12:13]
	v_mul_f64 v[8:9], v[66:67], s[28:29]
	v_fma_f64 v[48:49], v[241:242], s[34:35], -v[48:49]
	v_mul_f64 v[36:37], v[6:7], s[24:25]
	v_mul_f64 v[6:7], v[202:203], s[26:27]
	v_add_f64 v[32:33], v[32:33], v[172:173]
	v_add_f64 v[0:1], v[0:1], v[178:179]
	v_fma_f64 v[42:43], v[239:240], s[30:31], -v[42:43]
	v_add_f64 v[12:13], v[26:27], v[12:13]
	v_fma_f64 v[50:51], v[237:238], s[16:17], v[40:41]
	buffer_load_dword v245, off, s[64:67], 0 offset:320 ; 4-byte Folded Reload
	buffer_load_dword v246, off, s[64:67], 0 offset:324 ; 4-byte Folded Reload
	;; [unrolled: 1-line block ×4, first 2 shown]
	v_fma_f64 v[44:45], v[235:236], s[10:11], v[36:37]
	buffer_load_dword v241, off, s[64:67], 0 offset:304 ; 4-byte Folded Reload
	buffer_load_dword v242, off, s[64:67], 0 offset:308 ; 4-byte Folded Reload
	;; [unrolled: 1-line block ×4, first 2 shown]
	v_add_f64 v[32:33], v[32:33], v[176:177]
	v_add_f64 v[0:1], v[0:1], v[182:183]
	v_mul_f64 v[224:225], v[253:254], s[40:41]
	v_add_f64 v[12:13], v[48:49], v[12:13]
	v_fma_f64 v[48:49], v[210:211], s[30:31], v[8:9]
	v_fma_f64 v[8:9], v[210:211], s[30:31], -v[8:9]
	v_add_f64 v[50:51], v[50:51], v[52:53]
	v_mul_f64 v[52:53], v[253:254], s[18:19]
	v_add_f64 v[32:33], v[32:33], v[180:181]
	v_add_f64 v[0:1], v[0:1], v[186:187]
	v_fma_f64 v[38:39], v[204:205], s[20:21], v[224:225]
	v_add_f64 v[12:13], v[42:43], v[12:13]
	v_fma_f64 v[28:29], v[204:205], s[20:21], -v[224:225]
	v_mov_b32_e32 v251, v199
	v_add_f64 v[32:33], v[32:33], v[184:185]
	v_add_f64 v[0:1], v[0:1], v[190:191]
	;; [unrolled: 1-line block ×10, first 2 shown]
	s_waitcnt vmcnt(14)
	v_mul_f64 v[56:57], v[4:5], s[38:39]
	v_mul_f64 v[4:5], v[206:207], s[42:43]
	s_waitcnt vmcnt(10)
	v_mul_f64 v[58:59], v[58:59], s[46:47]
	s_waitcnt vmcnt(8)
	v_mul_f64 v[62:63], v[62:63], s[50:51]
	v_fma_f64 v[60:61], v[192:193], s[20:21], v[56:57]
	v_fma_f64 v[56:57], v[192:193], s[20:21], -v[56:57]
	v_fma_f64 v[146:147], v[2:3], s[22:23], v[58:59]
	v_fma_f64 v[2:3], v[2:3], s[22:23], -v[58:59]
	v_fma_f64 v[46:47], v[200:201], s[36:37], v[62:63]
	v_fma_f64 v[26:27], v[212:213], s[34:35], v[4:5]
	v_fma_f64 v[4:5], v[212:213], s[34:35], -v[4:5]
	buffer_load_dword v213, off, s[64:67], 0 offset:288 ; 4-byte Folded Reload
	buffer_load_dword v212, off, s[64:67], 0 offset:168 ; 4-byte Folded Reload
	v_add_f64 v[60:61], v[144:145], v[60:61]
	v_add_f64 v[56:57], v[144:145], v[56:57]
	buffer_load_dword v79, off, s[64:67], 0 offset:264 ; 4-byte Folded Reload
	buffer_load_dword v78, off, s[64:67], 0 offset:240 ; 4-byte Folded Reload
	;; [unrolled: 1-line block ×3, first 2 shown]
	v_add_f64 v[58:59], v[146:147], v[60:61]
	v_fma_f64 v[60:61], v[200:201], s[36:37], -v[62:63]
	v_add_f64 v[2:3], v[2:3], v[56:57]
	v_add_f64 v[46:47], v[46:47], v[58:59]
	;; [unrolled: 1-line block ×5, first 2 shown]
	v_fma_f64 v[4:5], v[237:238], s[16:17], -v[40:41]
	v_fma_f64 v[40:41], v[214:215], s[16:17], v[6:7]
	buffer_load_dword v237, off, s[64:67], 0 offset:272 ; 4-byte Folded Reload
	buffer_load_dword v238, off, s[64:67], 0 offset:276 ; 4-byte Folded Reload
	;; [unrolled: 1-line block ×8, first 2 shown]
	v_fma_f64 v[6:7], v[214:215], s[16:17], -v[6:7]
	v_add_f64 v[26:27], v[48:49], v[26:27]
	v_add_f64 v[2:3], v[8:9], v[2:3]
	v_fma_f64 v[8:9], v[235:236], s[10:11], -v[36:37]
	buffer_load_dword v233, off, s[64:67], 0 offset:248 ; 4-byte Folded Reload
	buffer_load_dword v234, off, s[64:67], 0 offset:252 ; 4-byte Folded Reload
	;; [unrolled: 1-line block ×4, first 2 shown]
	v_add_f64 v[4:5], v[4:5], v[12:13]
	v_fma_f64 v[12:13], v[208:209], s[10:11], v[54:55]
	buffer_load_dword v70, off, s[64:67], 0 offset:208 ; 4-byte Folded Reload
	buffer_load_dword v71, off, s[64:67], 0 offset:212 ; 4-byte Folded Reload
	;; [unrolled: 1-line block ×8, first 2 shown]
	v_add_f64 v[26:27], v[40:41], v[26:27]
	v_fma_f64 v[36:37], v[208:209], s[10:11], -v[54:55]
	buffer_load_dword v207, off, s[64:67], 0 offset:96 ; 4-byte Folded Reload
	buffer_load_dword v208, off, s[64:67], 0 offset:100 ; 4-byte Folded Reload
	;; [unrolled: 1-line block ×8, first 2 shown]
	v_add_f64 v[2:3], v[6:7], v[2:3]
	v_fma_f64 v[6:7], v[229:230], s[8:9], -v[30:31]
	v_add_f64 v[4:5], v[8:9], v[4:5]
	v_fma_f64 v[8:9], v[204:205], s[8:9], v[52:53]
	v_add_f64 v[12:13], v[12:13], v[26:27]
	v_fma_f64 v[26:27], v[229:230], s[8:9], v[30:31]
	buffer_load_dword v229, off, s[64:67], 0 offset:144 ; 4-byte Folded Reload
	buffer_load_dword v230, off, s[64:67], 0 offset:148 ; 4-byte Folded Reload
	;; [unrolled: 1-line block ×4, first 2 shown]
	v_add_f64 v[30:31], v[44:45], v[50:51]
	v_add_f64 v[36:37], v[36:37], v[2:3]
	buffer_load_dword v48, off, s[64:67], 0 offset:80 ; 4-byte Folded Reload
	buffer_load_dword v49, off, s[64:67], 0 offset:84 ; 4-byte Folded Reload
	;; [unrolled: 1-line block ×8, first 2 shown]
	v_add_f64 v[2:3], v[6:7], v[4:5]
	v_add_f64 v[146:147], v[26:27], v[30:31]
	s_waitcnt vmcnt(12)
	v_add_f64 v[0:1], v[0:1], v[42:43]
	v_add_f64 v[32:33], v[32:33], v[40:41]
	v_fma_f64 v[40:41], v[204:205], s[8:9], -v[52:53]
	v_add_f64 v[6:7], v[0:1], v[197:198]
	v_add_f64 v[4:5], v[32:33], v[195:196]
	v_add_f64 v[0:1], v[8:9], v[12:13]
	v_add_f64 v[8:9], v[38:39], v[24:25]
	v_mul_lo_u16_e32 v12, 17, v228
	v_lshlrev_b32_e32 v12, 4, v12
	v_add_f64 v[144:145], v[40:41], v[36:37]
	buffer_load_dword v38, off, s[64:67], 0 offset:48 ; 4-byte Folded Reload
	buffer_load_dword v39, off, s[64:67], 0 offset:52 ; 4-byte Folded Reload
	;; [unrolled: 1-line block ×8, first 2 shown]
	ds_write_b128 v12, v[4:7]
	ds_write_b128 v12, v[0:3] offset:16
	ds_write_b128 v12, v[8:11] offset:32
	;; [unrolled: 1-line block ×4, first 2 shown]
	buffer_load_dword v0, off, s[64:67], 0 offset:488 ; 4-byte Folded Reload
	buffer_load_dword v1, off, s[64:67], 0 offset:492 ; 4-byte Folded Reload
	buffer_load_dword v2, off, s[64:67], 0 offset:496 ; 4-byte Folded Reload
	buffer_load_dword v3, off, s[64:67], 0 offset:500 ; 4-byte Folded Reload
	s_waitcnt vmcnt(0)
	ds_write_b128 v12, v[0:3] offset:80
	buffer_load_dword v0, off, s[64:67], 0 offset:456 ; 4-byte Folded Reload
	buffer_load_dword v1, off, s[64:67], 0 offset:460 ; 4-byte Folded Reload
	buffer_load_dword v2, off, s[64:67], 0 offset:464 ; 4-byte Folded Reload
	buffer_load_dword v3, off, s[64:67], 0 offset:468 ; 4-byte Folded Reload
	s_waitcnt vmcnt(0)
	ds_write_b128 v12, v[0:3] offset:96
	;; [unrolled: 6-line block ×9, first 2 shown]
	ds_write_b128 v12, v[20:23] offset:224
	ds_write_b128 v12, v[220:223] offset:240
	buffer_load_dword v222, off, s[64:67], 0 offset:128 ; 4-byte Folded Reload
	buffer_load_dword v223, off, s[64:67], 0 offset:132 ; 4-byte Folded Reload
	;; [unrolled: 1-line block ×8, first 2 shown]
	ds_write_b128 v12, v[144:147] offset:256
.LBB0_13:
	s_or_b64 exec, exec, s[2:3]
	s_waitcnt vmcnt(0) lgkmcnt(0)
	s_barrier
	ds_read_b128 v[0:3], v14 offset:9792
	ds_read_b128 v[4:7], v14
	ds_read_b128 v[8:11], v14 offset:2448
	ds_read_b128 v[16:19], v14 offset:12240
	;; [unrolled: 1-line block ×4, first 2 shown]
	s_waitcnt lgkmcnt(5)
	v_mul_f64 v[24:25], v[40:41], v[0:1]
	v_mul_f64 v[12:13], v[40:41], v[2:3]
	ds_read_b128 v[148:151], v14 offset:4896
	ds_read_b128 v[152:155], v14 offset:7344
	s_waitcnt lgkmcnt(3)
	v_mul_f64 v[26:27], v[36:37], v[22:23]
	ds_read_b128 v[156:159], v14 offset:14688
	ds_read_b128 v[160:163], v14 offset:17136
	;; [unrolled: 1-line block ×4, first 2 shown]
	v_mul_f64 v[28:29], v[231:232], v[16:17]
	s_waitcnt lgkmcnt(6)
	v_mul_f64 v[30:31], v[224:225], v[146:147]
	v_fma_f64 v[2:3], v[38:39], v[2:3], -v[24:25]
	v_mul_f64 v[24:25], v[231:232], v[18:19]
	v_fma_f64 v[12:13], v[38:39], v[0:1], v[12:13]
	v_mul_f64 v[0:1], v[36:37], v[20:21]
	v_fma_f64 v[20:21], v[34:35], v[20:21], v[26:27]
	s_waitcnt lgkmcnt(3)
	v_mul_f64 v[32:33], v[50:51], v[158:159]
	v_fma_f64 v[28:29], v[229:230], v[18:19], -v[28:29]
	s_waitcnt lgkmcnt(1)
	v_mul_f64 v[18:19], v[46:47], v[164:165]
	v_mul_f64 v[26:27], v[224:225], v[144:145]
	v_fma_f64 v[24:25], v[229:230], v[16:17], v[24:25]
	v_mul_f64 v[16:17], v[46:47], v[166:167]
	v_fma_f64 v[22:23], v[34:35], v[22:23], -v[0:1]
	v_mul_f64 v[0:1], v[50:51], v[156:157]
	v_fma_f64 v[34:35], v[48:49], v[156:157], v[32:33]
	v_mul_f64 v[32:33], v[220:221], v[160:161]
	v_add_f64 v[36:37], v[12:13], v[20:21]
	v_fma_f64 v[30:31], v[222:223], v[144:145], v[30:31]
	v_fma_f64 v[26:27], v[222:223], v[146:147], -v[26:27]
	v_fma_f64 v[40:41], v[44:45], v[164:165], v[16:17]
	s_waitcnt lgkmcnt(0)
	v_mul_f64 v[16:17], v[209:210], v[170:171]
	v_fma_f64 v[38:39], v[48:49], v[158:159], -v[0:1]
	v_mul_f64 v[0:1], v[220:221], v[162:163]
	v_fma_f64 v[44:45], v[44:45], v[166:167], -v[18:19]
	v_add_f64 v[18:19], v[4:5], v[12:13]
	v_fma_f64 v[48:49], v[218:219], v[162:163], -v[32:33]
	v_fma_f64 v[32:33], v[36:37], -0.5, v[4:5]
	v_add_f64 v[36:37], v[2:3], -v[22:23]
	v_fma_f64 v[50:51], v[207:208], v[168:169], v[16:17]
	v_add_f64 v[16:17], v[2:3], v[22:23]
	v_add_f64 v[2:3], v[6:7], v[2:3]
	v_fma_f64 v[46:47], v[218:219], v[160:161], v[0:1]
	v_add_f64 v[0:1], v[18:19], v[20:21]
	v_add_f64 v[18:19], v[24:25], v[30:31]
	v_add_f64 v[12:13], v[12:13], -v[20:21]
	v_mul_f64 v[42:43], v[209:210], v[168:169]
	v_add_f64 v[20:21], v[28:29], v[26:27]
	v_fma_f64 v[52:53], v[16:17], -0.5, v[6:7]
	v_add_f64 v[2:3], v[2:3], v[22:23]
	v_add_f64 v[22:23], v[8:9], v[24:25]
	s_mov_b32 s8, 0xe8584caa
	s_mov_b32 s9, 0xbfebb67a
	;; [unrolled: 1-line block ×4, first 2 shown]
	v_fma_f64 v[4:5], v[36:37], s[8:9], v[32:33]
	v_fma_f64 v[16:17], v[36:37], s[2:3], v[32:33]
	v_fma_f64 v[32:33], v[18:19], -0.5, v[8:9]
	v_fma_f64 v[6:7], v[12:13], s[2:3], v[52:53]
	v_fma_f64 v[18:19], v[12:13], s[8:9], v[52:53]
	v_add_f64 v[12:13], v[10:11], v[28:29]
	v_fma_f64 v[42:43], v[207:208], v[170:171], -v[42:43]
	v_add_f64 v[36:37], v[28:29], -v[26:27]
	v_add_f64 v[54:55], v[34:35], v[40:41]
	v_fma_f64 v[28:29], v[20:21], -0.5, v[10:11]
	v_add_f64 v[52:53], v[24:25], -v[30:31]
	v_add_f64 v[8:9], v[22:23], v[30:31]
	v_add_f64 v[30:31], v[148:149], v[34:35]
	;; [unrolled: 1-line block ×4, first 2 shown]
	v_add_f64 v[56:57], v[38:39], -v[44:45]
	v_fma_f64 v[54:55], v[54:55], -0.5, v[148:149]
	v_add_f64 v[38:39], v[150:151], v[38:39]
	v_fma_f64 v[22:23], v[52:53], s[2:3], v[28:29]
	v_fma_f64 v[26:27], v[52:53], s[8:9], v[28:29]
	v_add_f64 v[28:29], v[30:31], v[40:41]
	v_add_f64 v[30:31], v[46:47], v[50:51]
	;; [unrolled: 1-line block ×3, first 2 shown]
	v_fma_f64 v[12:13], v[12:13], -0.5, v[150:151]
	v_add_f64 v[40:41], v[34:35], -v[40:41]
	v_fma_f64 v[20:21], v[36:37], s[8:9], v[32:33]
	v_fma_f64 v[24:25], v[36:37], s[2:3], v[32:33]
	;; [unrolled: 1-line block ×4, first 2 shown]
	v_add_f64 v[54:55], v[152:153], v[46:47]
	v_fma_f64 v[56:57], v[30:31], -0.5, v[152:153]
	v_add_f64 v[58:59], v[48:49], -v[42:43]
	v_add_f64 v[60:61], v[154:155], v[48:49]
	v_fma_f64 v[52:53], v[52:53], -0.5, v[154:155]
	v_add_f64 v[62:63], v[46:47], -v[50:51]
	v_add_f64 v[30:31], v[38:39], v[44:45]
	v_fma_f64 v[34:35], v[40:41], s[2:3], v[12:13]
	v_fma_f64 v[38:39], v[40:41], s[8:9], v[12:13]
	v_add_f64 v[40:41], v[54:55], v[50:51]
	v_fma_f64 v[44:45], v[58:59], s[8:9], v[56:57]
	v_fma_f64 v[48:49], v[58:59], s[2:3], v[56:57]
	;; [unrolled: 3-line block ×3, first 2 shown]
	s_barrier
	ds_write_b128 v211, v[0:3]
	ds_write_b128 v211, v[4:7] offset:272
	ds_write_b128 v211, v[16:19] offset:544
	ds_write_b128 v212, v[8:11]
	ds_write_b128 v212, v[20:23] offset:272
	ds_write_b128 v212, v[24:27] offset:544
	;; [unrolled: 3-line block ×4, first 2 shown]
	s_waitcnt lgkmcnt(0)
	s_barrier
	ds_read_b128 v[0:3], v14
	ds_read_b128 v[4:7], v14 offset:2448
	ds_read_b128 v[8:11], v14 offset:9792
	ds_read_b128 v[16:19], v14 offset:12240
	ds_read_b128 v[20:23], v14 offset:19584
	ds_read_b128 v[24:27], v14 offset:22032
	ds_read_b128 v[28:31], v14 offset:4896
	ds_read_b128 v[32:35], v14 offset:7344
	s_waitcnt lgkmcnt(5)
	v_mul_f64 v[12:13], v[72:73], v[10:11]
	v_mul_f64 v[52:53], v[72:73], v[8:9]
	s_waitcnt lgkmcnt(3)
	v_mul_f64 v[54:55], v[68:69], v[22:23]
	v_mul_f64 v[56:57], v[68:69], v[20:21]
	;; [unrolled: 1-line block ×3, first 2 shown]
	ds_read_b128 v[36:39], v14 offset:14688
	ds_read_b128 v[40:43], v14 offset:17136
	;; [unrolled: 1-line block ×4, first 2 shown]
	s_waitcnt lgkmcnt(0)
	v_fma_f64 v[8:9], v[70:71], v[8:9], v[12:13]
	v_fma_f64 v[10:11], v[70:71], v[10:11], -v[52:53]
	v_mul_f64 v[12:13], v[235:236], v[16:17]
	v_fma_f64 v[20:21], v[66:67], v[20:21], v[54:55]
	v_mul_f64 v[52:53], v[76:77], v[26:27]
	v_fma_f64 v[22:23], v[66:67], v[22:23], -v[56:57]
	v_mul_f64 v[54:55], v[76:77], v[24:25]
	v_fma_f64 v[56:57], v[233:234], v[16:17], v[58:59]
	v_mul_f64 v[16:17], v[243:244], v[38:39]
	v_mul_f64 v[58:59], v[243:244], v[36:37]
	v_fma_f64 v[12:13], v[233:234], v[18:19], -v[12:13]
	v_mul_f64 v[18:19], v[239:240], v[46:47]
	v_fma_f64 v[24:25], v[74:75], v[24:25], v[52:53]
	v_mul_f64 v[52:53], v[239:240], v[44:45]
	v_fma_f64 v[26:27], v[74:75], v[26:27], -v[54:55]
	v_mul_f64 v[54:55], v[82:83], v[42:43]
	v_fma_f64 v[60:61], v[241:242], v[36:37], v[16:17]
	v_mul_f64 v[16:17], v[82:83], v[40:41]
	v_fma_f64 v[38:39], v[241:242], v[38:39], -v[58:59]
	v_fma_f64 v[44:45], v[237:238], v[44:45], v[18:19]
	v_add_f64 v[18:19], v[8:9], v[20:21]
	v_fma_f64 v[46:47], v[237:238], v[46:47], -v[52:53]
	v_mul_f64 v[36:37], v[247:248], v[50:51]
	v_fma_f64 v[52:53], v[80:81], v[40:41], v[54:55]
	v_mul_f64 v[40:41], v[247:248], v[48:49]
	v_add_f64 v[54:55], v[0:1], v[8:9]
	v_fma_f64 v[42:43], v[80:81], v[42:43], -v[16:17]
	v_add_f64 v[16:17], v[10:11], v[22:23]
	v_add_f64 v[58:59], v[10:11], -v[22:23]
	v_add_f64 v[10:11], v[2:3], v[10:11]
	v_fma_f64 v[18:19], v[18:19], -0.5, v[0:1]
	v_fma_f64 v[48:49], v[245:246], v[48:49], v[36:37]
	v_fma_f64 v[50:51], v[245:246], v[50:51], -v[40:41]
	v_add_f64 v[0:1], v[54:55], v[20:21]
	v_add_f64 v[36:37], v[56:57], v[24:25]
	v_fma_f64 v[40:41], v[16:17], -0.5, v[2:3]
	v_add_f64 v[20:21], v[8:9], -v[20:21]
	v_add_f64 v[2:3], v[10:11], v[22:23]
	v_add_f64 v[22:23], v[12:13], v[26:27]
	;; [unrolled: 1-line block ×3, first 2 shown]
	v_fma_f64 v[8:9], v[58:59], s[8:9], v[18:19]
	v_fma_f64 v[16:17], v[58:59], s[2:3], v[18:19]
	v_fma_f64 v[36:37], v[36:37], -0.5, v[4:5]
	v_add_f64 v[58:59], v[12:13], -v[26:27]
	v_fma_f64 v[10:11], v[20:21], s[2:3], v[40:41]
	v_add_f64 v[62:63], v[60:61], v[44:45]
	v_fma_f64 v[18:19], v[20:21], s[8:9], v[40:41]
	v_add_f64 v[12:13], v[6:7], v[12:13]
	v_fma_f64 v[40:41], v[22:23], -0.5, v[6:7]
	v_add_f64 v[56:57], v[56:57], -v[24:25]
	v_add_f64 v[4:5], v[54:55], v[24:25]
	v_add_f64 v[54:55], v[28:29], v[60:61]
	v_add_f64 v[64:65], v[38:39], -v[46:47]
	v_fma_f64 v[62:63], v[62:63], -0.5, v[28:29]
	v_fma_f64 v[20:21], v[58:59], s[8:9], v[36:37]
	v_add_f64 v[6:7], v[12:13], v[26:27]
	v_add_f64 v[12:13], v[38:39], v[46:47]
	v_fma_f64 v[22:23], v[56:57], s[2:3], v[40:41]
	v_fma_f64 v[26:27], v[56:57], s[8:9], v[40:41]
	v_add_f64 v[28:29], v[54:55], v[44:45]
	v_add_f64 v[54:55], v[52:53], v[48:49]
	;; [unrolled: 1-line block ×4, first 2 shown]
	v_fma_f64 v[24:25], v[58:59], s[2:3], v[36:37]
	v_fma_f64 v[36:37], v[64:65], s[8:9], v[62:63]
	;; [unrolled: 1-line block ×3, first 2 shown]
	v_fma_f64 v[12:13], v[12:13], -0.5, v[30:31]
	v_add_f64 v[44:45], v[60:61], -v[44:45]
	v_add_f64 v[58:59], v[32:33], v[52:53]
	v_fma_f64 v[54:55], v[54:55], -0.5, v[32:33]
	v_add_f64 v[60:61], v[42:43], -v[50:51]
	v_add_f64 v[62:63], v[34:35], v[42:43]
	v_fma_f64 v[56:57], v[56:57], -0.5, v[34:35]
	v_add_f64 v[52:53], v[52:53], -v[48:49]
	v_add_f64 v[30:31], v[38:39], v[46:47]
	v_fma_f64 v[38:39], v[44:45], s[2:3], v[12:13]
	v_fma_f64 v[42:43], v[44:45], s[8:9], v[12:13]
	v_add_f64 v[32:33], v[58:59], v[48:49]
	v_fma_f64 v[44:45], v[60:61], s[8:9], v[54:55]
	v_fma_f64 v[48:49], v[60:61], s[2:3], v[54:55]
	v_add_f64 v[34:35], v[62:63], v[50:51]
	v_fma_f64 v[46:47], v[52:53], s[2:3], v[56:57]
	v_fma_f64 v[50:51], v[52:53], s[8:9], v[56:57]
	s_barrier
	ds_write_b128 v227, v[0:3]
	ds_write_b128 v227, v[8:11] offset:816
	ds_write_b128 v227, v[16:19] offset:1632
	ds_write_b128 v249, v[4:7]
	ds_write_b128 v249, v[20:23] offset:816
	ds_write_b128 v249, v[24:27] offset:1632
	ds_write_b128 v250, v[28:31]
	ds_write_b128 v250, v[36:39] offset:816
	ds_write_b128 v250, v[40:43] offset:1632
	ds_write_b128 v251, v[32:35]
	ds_write_b128 v251, v[44:47] offset:816
	ds_write_b128 v251, v[48:51] offset:1632
	s_waitcnt lgkmcnt(0)
	s_barrier
	ds_read_b128 v[0:3], v14
	ds_read_b128 v[4:7], v14 offset:2448
	ds_read_b128 v[8:11], v14 offset:14688
	;; [unrolled: 1-line block ×11, first 2 shown]
	s_waitcnt lgkmcnt(9)
	v_mul_f64 v[12:13], v[86:87], v[10:11]
	v_mul_f64 v[52:53], v[86:87], v[8:9]
	s_waitcnt lgkmcnt(8)
	v_mul_f64 v[54:55], v[86:87], v[18:19]
	v_mul_f64 v[56:57], v[86:87], v[16:17]
	;; [unrolled: 3-line block ×4, first 2 shown]
	v_fma_f64 v[8:9], v[84:85], v[8:9], v[12:13]
	v_fma_f64 v[10:11], v[84:85], v[10:11], -v[52:53]
	v_fma_f64 v[12:13], v[84:85], v[16:17], v[54:55]
	v_fma_f64 v[18:19], v[84:85], v[18:19], -v[56:57]
	v_fma_f64 v[28:29], v[88:89], v[28:29], v[58:59]
	s_waitcnt lgkmcnt(1)
	v_mul_f64 v[52:53], v[98:99], v[46:47]
	v_mul_f64 v[54:55], v[98:99], v[44:45]
	s_waitcnt lgkmcnt(0)
	v_mul_f64 v[56:57], v[102:103], v[50:51]
	v_mul_f64 v[58:59], v[102:103], v[48:49]
	v_fma_f64 v[30:31], v[88:89], v[30:31], -v[60:61]
	v_fma_f64 v[32:33], v[92:93], v[32:33], v[62:63]
	v_fma_f64 v[34:35], v[92:93], v[34:35], -v[64:65]
	v_add_f64 v[8:9], v[0:1], -v[8:9]
	v_add_f64 v[10:11], v[2:3], -v[10:11]
	;; [unrolled: 1-line block ×3, first 2 shown]
	v_fma_f64 v[12:13], v[96:97], v[44:45], v[52:53]
	v_fma_f64 v[46:47], v[96:97], v[46:47], -v[54:55]
	v_fma_f64 v[48:49], v[100:101], v[48:49], v[56:57]
	v_fma_f64 v[50:51], v[100:101], v[50:51], -v[58:59]
	v_add_f64 v[18:19], v[6:7], -v[18:19]
	v_add_f64 v[28:29], v[20:21], -v[28:29]
	;; [unrolled: 1-line block ×5, first 2 shown]
	v_fma_f64 v[0:1], v[0:1], 2.0, -v[8:9]
	v_fma_f64 v[2:3], v[2:3], 2.0, -v[10:11]
	v_add_f64 v[44:45], v[36:37], -v[12:13]
	v_add_f64 v[46:47], v[38:39], -v[46:47]
	;; [unrolled: 1-line block ×4, first 2 shown]
	v_fma_f64 v[4:5], v[4:5], 2.0, -v[16:17]
	v_fma_f64 v[6:7], v[6:7], 2.0, -v[18:19]
	;; [unrolled: 1-line block ×10, first 2 shown]
	s_barrier
	ds_write_b128 v14, v[0:3]
	ds_write_b128 v14, v[8:11] offset:2448
	ds_write_b128 v14, v[4:7] offset:4896
	;; [unrolled: 1-line block ×11, first 2 shown]
	s_waitcnt lgkmcnt(0)
	s_barrier
	ds_read_b128 v[0:3], v14
	ds_read_b128 v[4:7], v14 offset:2448
	ds_read_b128 v[8:11], v14 offset:4896
	;; [unrolled: 1-line block ×7, first 2 shown]
	s_waitcnt lgkmcnt(5)
	v_mul_f64 v[12:13], v[106:107], v[10:11]
	v_mul_f64 v[52:53], v[106:107], v[8:9]
	s_waitcnt lgkmcnt(3)
	v_mul_f64 v[54:55], v[122:123], v[22:23]
	v_mul_f64 v[56:57], v[122:123], v[20:21]
	s_waitcnt lgkmcnt(1)
	v_mul_f64 v[58:59], v[114:115], v[30:31]
	ds_read_b128 v[36:39], v14 offset:19584
	ds_read_b128 v[40:43], v14 offset:22032
	;; [unrolled: 1-line block ×4, first 2 shown]
	v_fma_f64 v[8:9], v[104:105], v[8:9], v[12:13]
	v_mul_f64 v[12:13], v[114:115], v[28:29]
	v_fma_f64 v[10:11], v[104:105], v[10:11], -v[52:53]
	v_fma_f64 v[20:21], v[120:121], v[20:21], v[54:55]
	s_waitcnt lgkmcnt(3)
	v_mul_f64 v[52:53], v[110:111], v[38:39]
	v_mul_f64 v[54:55], v[110:111], v[36:37]
	v_fma_f64 v[22:23], v[120:121], v[22:23], -v[56:57]
	v_fma_f64 v[28:29], v[112:113], v[28:29], v[58:59]
	s_waitcnt lgkmcnt(1)
	v_mul_f64 v[56:57], v[130:131], v[46:47]
	v_mul_f64 v[58:59], v[130:131], v[44:45]
	v_fma_f64 v[12:13], v[112:113], v[30:31], -v[12:13]
	v_mul_f64 v[30:31], v[134:135], v[18:19]
	v_fma_f64 v[36:37], v[108:109], v[36:37], v[52:53]
	v_fma_f64 v[38:39], v[108:109], v[38:39], -v[54:55]
	v_mul_f64 v[52:53], v[134:135], v[16:17]
	v_mul_f64 v[54:55], v[142:143], v[26:27]
	v_fma_f64 v[44:45], v[128:129], v[44:45], v[56:57]
	v_fma_f64 v[46:47], v[128:129], v[46:47], -v[58:59]
	v_mul_f64 v[56:57], v[142:143], v[24:25]
	v_fma_f64 v[30:31], v[132:133], v[16:17], v[30:31]
	v_mul_f64 v[16:17], v[138:139], v[34:35]
	v_mul_f64 v[58:59], v[138:139], v[32:33]
	v_fma_f64 v[52:53], v[132:133], v[18:19], -v[52:53]
	v_fma_f64 v[54:55], v[140:141], v[24:25], v[54:55]
	v_mul_f64 v[18:19], v[126:127], v[42:43]
	v_mul_f64 v[24:25], v[126:127], v[40:41]
	v_fma_f64 v[26:27], v[140:141], v[26:27], -v[56:57]
	v_add_f64 v[56:57], v[20:21], v[36:37]
	v_fma_f64 v[32:33], v[136:137], v[32:33], v[16:17]
	v_fma_f64 v[34:35], v[136:137], v[34:35], -v[58:59]
	s_waitcnt lgkmcnt(0)
	v_mul_f64 v[16:17], v[118:119], v[50:51]
	v_add_f64 v[58:59], v[12:13], v[46:47]
	v_fma_f64 v[40:41], v[124:125], v[40:41], v[18:19]
	v_fma_f64 v[42:43], v[124:125], v[42:43], -v[24:25]
	v_add_f64 v[18:19], v[0:1], v[20:21]
	v_fma_f64 v[0:1], v[56:57], -0.5, v[0:1]
	v_add_f64 v[24:25], v[22:23], -v[38:39]
	v_add_f64 v[56:57], v[28:29], v[44:45]
	v_fma_f64 v[60:61], v[116:117], v[48:49], v[16:17]
	v_fma_f64 v[16:17], v[58:59], -0.5, v[10:11]
	v_add_f64 v[58:59], v[28:29], -v[44:45]
	v_mul_f64 v[48:49], v[118:119], v[48:49]
	v_add_f64 v[62:63], v[18:19], v[36:37]
	v_add_f64 v[18:19], v[22:23], v[38:39]
	v_fma_f64 v[64:65], v[24:25], s[8:9], v[0:1]
	v_fma_f64 v[56:57], v[56:57], -0.5, v[8:9]
	v_add_f64 v[66:67], v[12:13], -v[46:47]
	v_fma_f64 v[68:69], v[24:25], s[2:3], v[0:1]
	v_fma_f64 v[0:1], v[58:59], s[2:3], v[16:17]
	;; [unrolled: 1-line block ×3, first 2 shown]
	v_add_f64 v[22:23], v[2:3], v[22:23]
	v_add_f64 v[8:9], v[8:9], v[28:29]
	v_fma_f64 v[2:3], v[18:19], -0.5, v[2:3]
	v_add_f64 v[18:19], v[20:21], -v[36:37]
	v_fma_f64 v[20:21], v[66:67], s[8:9], v[56:57]
	v_fma_f64 v[24:25], v[66:67], s[2:3], v[56:57]
	v_mul_f64 v[28:29], v[0:1], s[8:9]
	v_mul_f64 v[36:37], v[16:17], s[8:9]
	v_add_f64 v[10:11], v[10:11], v[12:13]
	v_add_f64 v[12:13], v[22:23], v[38:39]
	v_mul_f64 v[0:1], v[0:1], 0.5
	v_add_f64 v[22:23], v[8:9], v[44:45]
	v_fma_f64 v[48:49], v[116:117], v[50:51], -v[48:49]
	v_mul_f64 v[16:17], v[16:17], -0.5
	v_fma_f64 v[28:29], v[20:21], 0.5, v[28:29]
	v_fma_f64 v[36:37], v[24:25], -0.5, v[36:37]
	v_add_f64 v[44:45], v[10:11], v[46:47]
	v_add_f64 v[50:51], v[54:55], v[40:41]
	v_fma_f64 v[56:57], v[20:21], s[2:3], v[0:1]
	v_add_f64 v[0:1], v[62:63], v[22:23]
	v_add_f64 v[20:21], v[62:63], -v[22:23]
	v_add_f64 v[62:63], v[34:35], v[48:49]
	v_fma_f64 v[38:39], v[18:19], s[2:3], v[2:3]
	v_fma_f64 v[46:47], v[18:19], s[8:9], v[2:3]
	;; [unrolled: 1-line block ×3, first 2 shown]
	v_add_f64 v[8:9], v[64:65], v[28:29]
	v_add_f64 v[16:17], v[68:69], v[36:37]
	v_add_f64 v[2:3], v[12:13], v[44:45]
	v_add_f64 v[24:25], v[64:65], -v[28:29]
	v_add_f64 v[64:65], v[4:5], v[54:55]
	v_add_f64 v[28:29], v[68:69], -v[36:37]
	v_fma_f64 v[4:5], v[50:51], -0.5, v[4:5]
	v_add_f64 v[36:37], v[26:27], -v[42:43]
	v_add_f64 v[50:51], v[32:33], v[60:61]
	v_add_f64 v[22:23], v[12:13], -v[44:45]
	v_fma_f64 v[12:13], v[62:63], -0.5, v[52:53]
	v_add_f64 v[44:45], v[32:33], -v[60:61]
	v_add_f64 v[62:63], v[64:65], v[40:41]
	v_add_f64 v[64:65], v[6:7], v[26:27]
	;; [unrolled: 1-line block ×3, first 2 shown]
	v_fma_f64 v[66:67], v[36:37], s[8:9], v[4:5]
	v_fma_f64 v[50:51], v[50:51], -0.5, v[30:31]
	v_add_f64 v[68:69], v[34:35], -v[48:49]
	v_fma_f64 v[70:71], v[36:37], s[2:3], v[4:5]
	v_fma_f64 v[4:5], v[44:45], s[2:3], v[12:13]
	;; [unrolled: 1-line block ×3, first 2 shown]
	v_add_f64 v[30:31], v[30:31], v[32:33]
	v_add_f64 v[34:35], v[52:53], v[34:35]
	v_fma_f64 v[6:7], v[26:27], -0.5, v[6:7]
	v_add_f64 v[26:27], v[54:55], -v[40:41]
	v_fma_f64 v[32:33], v[68:69], s[8:9], v[50:51]
	v_fma_f64 v[36:37], v[68:69], s[2:3], v[50:51]
	v_mul_f64 v[40:41], v[4:5], s[8:9]
	v_mul_f64 v[4:5], v[4:5], 0.5
	v_mul_f64 v[44:45], v[12:13], s[8:9]
	v_mul_f64 v[12:13], v[12:13], -0.5
	v_add_f64 v[42:43], v[64:65], v[42:43]
	v_add_f64 v[54:55], v[30:31], v[60:61]
	;; [unrolled: 1-line block ×3, first 2 shown]
	v_fma_f64 v[50:51], v[26:27], s[2:3], v[6:7]
	v_fma_f64 v[60:61], v[32:33], 0.5, v[40:41]
	v_fma_f64 v[72:73], v[32:33], s[2:3], v[4:5]
	v_fma_f64 v[52:53], v[26:27], s[8:9], v[6:7]
	v_fma_f64 v[64:65], v[36:37], -0.5, v[44:45]
	v_fma_f64 v[12:13], v[36:37], s[2:3], v[12:13]
	v_add_f64 v[10:11], v[38:39], v[56:57]
	v_add_f64 v[18:19], v[46:47], v[58:59]
	v_add_f64 v[26:27], v[38:39], -v[56:57]
	v_add_f64 v[30:31], v[46:47], -v[58:59]
	v_add_f64 v[4:5], v[62:63], v[54:55]
	v_add_f64 v[6:7], v[42:43], v[68:69]
	;; [unrolled: 1-line block ×6, first 2 shown]
	v_add_f64 v[40:41], v[62:63], -v[54:55]
	v_add_f64 v[44:45], v[66:67], -v[60:61]
	;; [unrolled: 1-line block ×6, first 2 shown]
	ds_write_b128 v14, v[0:3]
	ds_write_b128 v14, v[8:11] offset:4896
	ds_write_b128 v14, v[16:19] offset:9792
	;; [unrolled: 1-line block ×11, first 2 shown]
	s_waitcnt lgkmcnt(0)
	s_barrier
	s_and_b64 exec, exec, s[0:1]
	s_cbranch_execz .LBB0_15
; %bb.14:
	global_load_dwordx4 v[0:3], v255, s[12:13]
	ds_read_b128 v[4:7], v14
	ds_read_b128 v[8:11], v15 offset:1728
	v_mad_u64_u32 v[16:17], s[0:1], s4, v228, 0
	v_mad_u64_u32 v[12:13], s[0:1], s6, v194, 0
	v_mov_b32_e32 v14, v17
	s_mul_i32 s3, s5, 0x6c0
	v_mad_u64_u32 v[20:21], s[0:1], s7, v194, v[13:14]
	v_mad_u64_u32 v[21:22], s[0:1], s5, v228, v[14:15]
	s_mov_b32 s0, 0x672e4abd
	s_mov_b32 s1, 0x3f41d8f5
	v_mov_b32_e32 v13, v20
	v_mov_b32_e32 v17, v21
	;; [unrolled: 1-line block ×3, first 2 shown]
	s_mul_hi_u32 s5, s4, 0x6c0
	s_mul_i32 s2, s4, 0x6c0
	s_add_i32 s3, s5, s3
	s_movk_i32 s4, 0x1000
	s_waitcnt vmcnt(0) lgkmcnt(1)
	v_mul_f64 v[18:19], v[6:7], v[2:3]
	v_mul_f64 v[2:3], v[4:5], v[2:3]
	v_fma_f64 v[4:5], v[4:5], v[0:1], v[18:19]
	v_fma_f64 v[2:3], v[0:1], v[6:7], -v[2:3]
	v_lshlrev_b64 v[6:7], 4, v[12:13]
	v_lshlrev_b64 v[12:13], 4, v[16:17]
	v_mul_f64 v[0:1], v[4:5], s[0:1]
	v_mul_f64 v[2:3], v[2:3], s[0:1]
	v_add_co_u32_e32 v4, vcc, s14, v6
	v_addc_co_u32_e32 v5, vcc, v14, v7, vcc
	v_add_co_u32_e32 v4, vcc, v4, v12
	v_addc_co_u32_e32 v5, vcc, v5, v13, vcc
	global_store_dwordx4 v[4:5], v[0:3], off
	global_load_dwordx4 v[0:3], v255, s[12:13] offset:1728
	v_add_co_u32_e32 v12, vcc, s2, v4
	v_mov_b32_e32 v14, s13
	s_waitcnt vmcnt(0) lgkmcnt(0)
	v_mul_f64 v[6:7], v[10:11], v[2:3]
	v_mul_f64 v[2:3], v[8:9], v[2:3]
	v_fma_f64 v[6:7], v[8:9], v[0:1], v[6:7]
	v_fma_f64 v[2:3], v[0:1], v[10:11], -v[2:3]
	v_mul_f64 v[0:1], v[6:7], s[0:1]
	v_mul_f64 v[2:3], v[2:3], s[0:1]
	v_mov_b32_e32 v6, s3
	v_addc_co_u32_e32 v13, vcc, v5, v6, vcc
	global_store_dwordx4 v[12:13], v[0:3], off
	global_load_dwordx4 v[0:3], v255, s[12:13] offset:3456
	ds_read_b128 v[4:7], v15 offset:3456
	ds_read_b128 v[8:11], v15 offset:5184
	s_waitcnt vmcnt(0) lgkmcnt(1)
	v_mul_f64 v[16:17], v[6:7], v[2:3]
	v_mul_f64 v[2:3], v[4:5], v[2:3]
	v_fma_f64 v[4:5], v[4:5], v[0:1], v[16:17]
	v_fma_f64 v[6:7], v[0:1], v[6:7], -v[2:3]
	v_add_co_u32_e32 v0, vcc, s12, v255
	v_addc_co_u32_e32 v1, vcc, 0, v14, vcc
	v_mov_b32_e32 v14, s3
	v_mul_f64 v[2:3], v[4:5], s[0:1]
	v_mul_f64 v[4:5], v[6:7], s[0:1]
	v_add_co_u32_e32 v6, vcc, s4, v0
	v_addc_co_u32_e32 v7, vcc, 0, v1, vcc
	v_add_co_u32_e32 v12, vcc, s2, v12
	v_addc_co_u32_e32 v13, vcc, v13, v14, vcc
	global_store_dwordx4 v[12:13], v[2:5], off
	global_load_dwordx4 v[2:5], v[6:7], off offset:1088
	s_movk_i32 s4, 0x2000
	s_waitcnt vmcnt(0) lgkmcnt(0)
	v_mul_f64 v[16:17], v[10:11], v[4:5]
	v_mul_f64 v[4:5], v[8:9], v[4:5]
	v_fma_f64 v[8:9], v[8:9], v[2:3], v[16:17]
	v_fma_f64 v[4:5], v[2:3], v[10:11], -v[4:5]
	v_add_co_u32_e32 v16, vcc, s2, v12
	v_mul_f64 v[2:3], v[8:9], s[0:1]
	v_mul_f64 v[4:5], v[4:5], s[0:1]
	v_mov_b32_e32 v8, s3
	v_addc_co_u32_e32 v17, vcc, v13, v8, vcc
	global_store_dwordx4 v[16:17], v[2:5], off
	global_load_dwordx4 v[2:5], v[6:7], off offset:2816
	ds_read_b128 v[6:9], v15 offset:6912
	ds_read_b128 v[10:13], v15 offset:8640
	s_waitcnt vmcnt(0) lgkmcnt(1)
	v_mul_f64 v[18:19], v[8:9], v[4:5]
	v_mul_f64 v[4:5], v[6:7], v[4:5]
	v_fma_f64 v[6:7], v[6:7], v[2:3], v[18:19]
	v_fma_f64 v[4:5], v[2:3], v[8:9], -v[4:5]
	v_add_co_u32_e32 v18, vcc, s4, v0
	v_addc_co_u32_e32 v19, vcc, 0, v1, vcc
	v_mov_b32_e32 v8, s3
	s_movk_i32 s4, 0x3000
	v_mul_f64 v[2:3], v[6:7], s[0:1]
	v_mul_f64 v[4:5], v[4:5], s[0:1]
	v_add_co_u32_e32 v6, vcc, s2, v16
	v_addc_co_u32_e32 v7, vcc, v17, v8, vcc
	v_add_co_u32_e32 v16, vcc, s2, v6
	global_store_dwordx4 v[6:7], v[2:5], off
	global_load_dwordx4 v[2:5], v[18:19], off offset:448
	s_waitcnt vmcnt(0) lgkmcnt(0)
	v_mul_f64 v[8:9], v[12:13], v[4:5]
	v_mul_f64 v[4:5], v[10:11], v[4:5]
	v_fma_f64 v[8:9], v[10:11], v[2:3], v[8:9]
	v_fma_f64 v[4:5], v[2:3], v[12:13], -v[4:5]
	v_mul_f64 v[2:3], v[8:9], s[0:1]
	v_mul_f64 v[4:5], v[4:5], s[0:1]
	v_mov_b32_e32 v8, s3
	v_addc_co_u32_e32 v17, vcc, v7, v8, vcc
	global_store_dwordx4 v[16:17], v[2:5], off
	global_load_dwordx4 v[2:5], v[18:19], off offset:2176
	ds_read_b128 v[6:9], v15 offset:10368
	ds_read_b128 v[10:13], v15 offset:12096
	s_waitcnt vmcnt(0) lgkmcnt(1)
	v_mul_f64 v[20:21], v[8:9], v[4:5]
	v_mul_f64 v[4:5], v[6:7], v[4:5]
	v_fma_f64 v[6:7], v[6:7], v[2:3], v[20:21]
	v_fma_f64 v[4:5], v[2:3], v[8:9], -v[4:5]
	v_mul_f64 v[2:3], v[6:7], s[0:1]
	v_mul_f64 v[4:5], v[4:5], s[0:1]
	v_mov_b32_e32 v7, s3
	v_add_co_u32_e32 v6, vcc, s2, v16
	v_addc_co_u32_e32 v7, vcc, v17, v7, vcc
	v_add_co_u32_e32 v16, vcc, s4, v0
	global_store_dwordx4 v[6:7], v[2:5], off
	global_load_dwordx4 v[2:5], v[18:19], off offset:3904
	v_addc_co_u32_e32 v17, vcc, 0, v1, vcc
	v_add_co_u32_e32 v18, vcc, s2, v6
	s_movk_i32 s4, 0x4000
	s_waitcnt vmcnt(0) lgkmcnt(0)
	v_mul_f64 v[8:9], v[12:13], v[4:5]
	v_mul_f64 v[4:5], v[10:11], v[4:5]
	v_fma_f64 v[8:9], v[10:11], v[2:3], v[8:9]
	v_fma_f64 v[4:5], v[2:3], v[12:13], -v[4:5]
	v_mov_b32_e32 v10, s3
	v_addc_co_u32_e32 v19, vcc, v7, v10, vcc
	v_mul_f64 v[2:3], v[8:9], s[0:1]
	v_mul_f64 v[4:5], v[4:5], s[0:1]
	global_store_dwordx4 v[18:19], v[2:5], off
	global_load_dwordx4 v[2:5], v[16:17], off offset:1536
	ds_read_b128 v[6:9], v15 offset:13824
	ds_read_b128 v[10:13], v15 offset:15552
	s_waitcnt vmcnt(0) lgkmcnt(1)
	v_mul_f64 v[20:21], v[8:9], v[4:5]
	v_mul_f64 v[4:5], v[6:7], v[4:5]
	v_fma_f64 v[6:7], v[6:7], v[2:3], v[20:21]
	v_fma_f64 v[4:5], v[2:3], v[8:9], -v[4:5]
	v_mul_f64 v[2:3], v[6:7], s[0:1]
	v_mul_f64 v[4:5], v[4:5], s[0:1]
	v_mov_b32_e32 v7, s3
	v_add_co_u32_e32 v6, vcc, s2, v18
	v_addc_co_u32_e32 v7, vcc, v19, v7, vcc
	global_store_dwordx4 v[6:7], v[2:5], off
	global_load_dwordx4 v[2:5], v[16:17], off offset:3264
	v_add_co_u32_e32 v16, vcc, s4, v0
	v_addc_co_u32_e32 v17, vcc, 0, v1, vcc
	v_add_co_u32_e32 v18, vcc, s2, v6
	s_movk_i32 s4, 0x5000
	s_waitcnt vmcnt(0) lgkmcnt(0)
	v_mul_f64 v[8:9], v[12:13], v[4:5]
	v_mul_f64 v[4:5], v[10:11], v[4:5]
	v_fma_f64 v[8:9], v[10:11], v[2:3], v[8:9]
	v_fma_f64 v[4:5], v[2:3], v[12:13], -v[4:5]
	v_mov_b32_e32 v10, s3
	v_addc_co_u32_e32 v19, vcc, v7, v10, vcc
	v_mul_f64 v[2:3], v[8:9], s[0:1]
	v_mul_f64 v[4:5], v[4:5], s[0:1]
	global_store_dwordx4 v[18:19], v[2:5], off
	global_load_dwordx4 v[2:5], v[16:17], off offset:896
	ds_read_b128 v[6:9], v15 offset:17280
	ds_read_b128 v[10:13], v15 offset:19008
	s_waitcnt vmcnt(0) lgkmcnt(1)
	v_mul_f64 v[20:21], v[8:9], v[4:5]
	v_mul_f64 v[4:5], v[6:7], v[4:5]
	v_fma_f64 v[6:7], v[6:7], v[2:3], v[20:21]
	v_fma_f64 v[4:5], v[2:3], v[8:9], -v[4:5]
	v_mul_f64 v[2:3], v[6:7], s[0:1]
	v_mul_f64 v[4:5], v[4:5], s[0:1]
	v_mov_b32_e32 v7, s3
	v_add_co_u32_e32 v6, vcc, s2, v18
	v_addc_co_u32_e32 v7, vcc, v19, v7, vcc
	global_store_dwordx4 v[6:7], v[2:5], off
	global_load_dwordx4 v[2:5], v[16:17], off offset:2624
	v_add_co_u32_e32 v16, vcc, s4, v0
	v_addc_co_u32_e32 v17, vcc, 0, v1, vcc
	v_add_co_u32_e32 v18, vcc, s2, v6
	s_movk_i32 s4, 0x6000
	s_waitcnt vmcnt(0) lgkmcnt(0)
	v_mul_f64 v[8:9], v[12:13], v[4:5]
	v_mul_f64 v[4:5], v[10:11], v[4:5]
	v_fma_f64 v[8:9], v[10:11], v[2:3], v[8:9]
	v_fma_f64 v[4:5], v[2:3], v[12:13], -v[4:5]
	v_mov_b32_e32 v10, s3
	v_addc_co_u32_e32 v19, vcc, v7, v10, vcc
	v_mul_f64 v[2:3], v[8:9], s[0:1]
	v_mul_f64 v[4:5], v[4:5], s[0:1]
	global_store_dwordx4 v[18:19], v[2:5], off
	global_load_dwordx4 v[2:5], v[16:17], off offset:256
	ds_read_b128 v[6:9], v15 offset:20736
	ds_read_b128 v[10:13], v15 offset:22464
	s_waitcnt vmcnt(0) lgkmcnt(1)
	v_mul_f64 v[20:21], v[8:9], v[4:5]
	v_mul_f64 v[4:5], v[6:7], v[4:5]
	v_fma_f64 v[6:7], v[6:7], v[2:3], v[20:21]
	v_fma_f64 v[4:5], v[2:3], v[8:9], -v[4:5]
	v_mul_f64 v[2:3], v[6:7], s[0:1]
	v_mul_f64 v[4:5], v[4:5], s[0:1]
	v_mov_b32_e32 v7, s3
	v_add_co_u32_e32 v6, vcc, s2, v18
	v_addc_co_u32_e32 v7, vcc, v19, v7, vcc
	v_add_co_u32_e32 v18, vcc, s2, v6
	global_store_dwordx4 v[6:7], v[2:5], off
	global_load_dwordx4 v[2:5], v[16:17], off offset:1984
	s_waitcnt vmcnt(0) lgkmcnt(0)
	v_mul_f64 v[8:9], v[12:13], v[4:5]
	v_mul_f64 v[4:5], v[10:11], v[4:5]
	v_fma_f64 v[8:9], v[10:11], v[2:3], v[8:9]
	v_fma_f64 v[4:5], v[2:3], v[12:13], -v[4:5]
	v_mul_f64 v[2:3], v[8:9], s[0:1]
	v_mul_f64 v[4:5], v[4:5], s[0:1]
	v_mov_b32_e32 v8, s3
	v_addc_co_u32_e32 v19, vcc, v7, v8, vcc
	global_store_dwordx4 v[18:19], v[2:5], off
	global_load_dwordx4 v[2:5], v[16:17], off offset:3712
	ds_read_b128 v[6:9], v15 offset:24192
	ds_read_b128 v[10:13], v15 offset:25920
	s_waitcnt vmcnt(0) lgkmcnt(1)
	v_mul_f64 v[16:17], v[8:9], v[4:5]
	v_mul_f64 v[4:5], v[6:7], v[4:5]
	v_fma_f64 v[6:7], v[6:7], v[2:3], v[16:17]
	v_fma_f64 v[4:5], v[2:3], v[8:9], -v[4:5]
	v_mov_b32_e32 v9, s3
	v_mul_f64 v[2:3], v[6:7], s[0:1]
	v_mul_f64 v[4:5], v[4:5], s[0:1]
	v_add_co_u32_e32 v6, vcc, s4, v0
	v_addc_co_u32_e32 v7, vcc, 0, v1, vcc
	v_add_co_u32_e32 v8, vcc, s2, v18
	v_addc_co_u32_e32 v9, vcc, v19, v9, vcc
	global_store_dwordx4 v[8:9], v[2:5], off
	global_load_dwordx4 v[0:3], v[6:7], off offset:1344
	v_add_co_u32_e32 v8, vcc, s2, v8
	s_waitcnt vmcnt(0) lgkmcnt(0)
	v_mul_f64 v[4:5], v[12:13], v[2:3]
	v_mul_f64 v[2:3], v[10:11], v[2:3]
	v_fma_f64 v[4:5], v[10:11], v[0:1], v[4:5]
	v_fma_f64 v[2:3], v[0:1], v[12:13], -v[2:3]
	v_mul_f64 v[0:1], v[4:5], s[0:1]
	v_mul_f64 v[2:3], v[2:3], s[0:1]
	v_mov_b32_e32 v4, s3
	v_addc_co_u32_e32 v9, vcc, v9, v4, vcc
	global_store_dwordx4 v[8:9], v[0:3], off
	global_load_dwordx4 v[0:3], v[6:7], off offset:3072
	ds_read_b128 v[4:7], v15 offset:27648
	s_waitcnt vmcnt(0) lgkmcnt(0)
	v_mul_f64 v[10:11], v[6:7], v[2:3]
	v_mul_f64 v[2:3], v[4:5], v[2:3]
	v_fma_f64 v[4:5], v[4:5], v[0:1], v[10:11]
	v_fma_f64 v[2:3], v[0:1], v[6:7], -v[2:3]
	v_mul_f64 v[0:1], v[4:5], s[0:1]
	v_mul_f64 v[2:3], v[2:3], s[0:1]
	v_mov_b32_e32 v5, s3
	v_add_co_u32_e32 v4, vcc, s2, v8
	v_addc_co_u32_e32 v5, vcc, v9, v5, vcc
	global_store_dwordx4 v[4:5], v[0:3], off
.LBB0_15:
	s_endpgm
	.section	.rodata,"a",@progbits
	.p2align	6, 0x0
	.amdhsa_kernel bluestein_single_back_len1836_dim1_dp_op_CI_CI
		.amdhsa_group_segment_fixed_size 29376
		.amdhsa_private_segment_fixed_size 628
		.amdhsa_kernarg_size 104
		.amdhsa_user_sgpr_count 6
		.amdhsa_user_sgpr_private_segment_buffer 1
		.amdhsa_user_sgpr_dispatch_ptr 0
		.amdhsa_user_sgpr_queue_ptr 0
		.amdhsa_user_sgpr_kernarg_segment_ptr 1
		.amdhsa_user_sgpr_dispatch_id 0
		.amdhsa_user_sgpr_flat_scratch_init 0
		.amdhsa_user_sgpr_private_segment_size 0
		.amdhsa_uses_dynamic_stack 0
		.amdhsa_system_sgpr_private_segment_wavefront_offset 1
		.amdhsa_system_sgpr_workgroup_id_x 1
		.amdhsa_system_sgpr_workgroup_id_y 0
		.amdhsa_system_sgpr_workgroup_id_z 0
		.amdhsa_system_sgpr_workgroup_info 0
		.amdhsa_system_vgpr_workitem_id 0
		.amdhsa_next_free_vgpr 256
		.amdhsa_next_free_sgpr 68
		.amdhsa_reserve_vcc 1
		.amdhsa_reserve_flat_scratch 0
		.amdhsa_float_round_mode_32 0
		.amdhsa_float_round_mode_16_64 0
		.amdhsa_float_denorm_mode_32 3
		.amdhsa_float_denorm_mode_16_64 3
		.amdhsa_dx10_clamp 1
		.amdhsa_ieee_mode 1
		.amdhsa_fp16_overflow 0
		.amdhsa_exception_fp_ieee_invalid_op 0
		.amdhsa_exception_fp_denorm_src 0
		.amdhsa_exception_fp_ieee_div_zero 0
		.amdhsa_exception_fp_ieee_overflow 0
		.amdhsa_exception_fp_ieee_underflow 0
		.amdhsa_exception_fp_ieee_inexact 0
		.amdhsa_exception_int_div_zero 0
	.end_amdhsa_kernel
	.text
.Lfunc_end0:
	.size	bluestein_single_back_len1836_dim1_dp_op_CI_CI, .Lfunc_end0-bluestein_single_back_len1836_dim1_dp_op_CI_CI
                                        ; -- End function
	.section	.AMDGPU.csdata,"",@progbits
; Kernel info:
; codeLenInByte = 30608
; NumSgprs: 72
; NumVgprs: 256
; ScratchSize: 628
; MemoryBound: 0
; FloatMode: 240
; IeeeMode: 1
; LDSByteSize: 29376 bytes/workgroup (compile time only)
; SGPRBlocks: 8
; VGPRBlocks: 63
; NumSGPRsForWavesPerEU: 72
; NumVGPRsForWavesPerEU: 256
; Occupancy: 1
; WaveLimiterHint : 1
; COMPUTE_PGM_RSRC2:SCRATCH_EN: 1
; COMPUTE_PGM_RSRC2:USER_SGPR: 6
; COMPUTE_PGM_RSRC2:TRAP_HANDLER: 0
; COMPUTE_PGM_RSRC2:TGID_X_EN: 1
; COMPUTE_PGM_RSRC2:TGID_Y_EN: 0
; COMPUTE_PGM_RSRC2:TGID_Z_EN: 0
; COMPUTE_PGM_RSRC2:TIDIG_COMP_CNT: 0
	.type	__hip_cuid_128274f0ae559617,@object ; @__hip_cuid_128274f0ae559617
	.section	.bss,"aw",@nobits
	.globl	__hip_cuid_128274f0ae559617
__hip_cuid_128274f0ae559617:
	.byte	0                               ; 0x0
	.size	__hip_cuid_128274f0ae559617, 1

	.ident	"AMD clang version 19.0.0git (https://github.com/RadeonOpenCompute/llvm-project roc-6.4.0 25133 c7fe45cf4b819c5991fe208aaa96edf142730f1d)"
	.section	".note.GNU-stack","",@progbits
	.addrsig
	.addrsig_sym __hip_cuid_128274f0ae559617
	.amdgpu_metadata
---
amdhsa.kernels:
  - .args:
      - .actual_access:  read_only
        .address_space:  global
        .offset:         0
        .size:           8
        .value_kind:     global_buffer
      - .actual_access:  read_only
        .address_space:  global
        .offset:         8
        .size:           8
        .value_kind:     global_buffer
      - .actual_access:  read_only
        .address_space:  global
        .offset:         16
        .size:           8
        .value_kind:     global_buffer
      - .actual_access:  read_only
        .address_space:  global
        .offset:         24
        .size:           8
        .value_kind:     global_buffer
      - .actual_access:  read_only
        .address_space:  global
        .offset:         32
        .size:           8
        .value_kind:     global_buffer
      - .offset:         40
        .size:           8
        .value_kind:     by_value
      - .address_space:  global
        .offset:         48
        .size:           8
        .value_kind:     global_buffer
      - .address_space:  global
        .offset:         56
        .size:           8
        .value_kind:     global_buffer
      - .address_space:  global
        .offset:         64
        .size:           8
        .value_kind:     global_buffer
      - .address_space:  global
        .offset:         72
        .size:           8
        .value_kind:     global_buffer
      - .offset:         80
        .size:           4
        .value_kind:     by_value
      - .address_space:  global
        .offset:         88
        .size:           8
        .value_kind:     global_buffer
      - .address_space:  global
        .offset:         96
        .size:           8
        .value_kind:     global_buffer
    .group_segment_fixed_size: 29376
    .kernarg_segment_align: 8
    .kernarg_segment_size: 104
    .language:       OpenCL C
    .language_version:
      - 2
      - 0
    .max_flat_workgroup_size: 153
    .name:           bluestein_single_back_len1836_dim1_dp_op_CI_CI
    .private_segment_fixed_size: 628
    .sgpr_count:     72
    .sgpr_spill_count: 0
    .symbol:         bluestein_single_back_len1836_dim1_dp_op_CI_CI.kd
    .uniform_work_group_size: 1
    .uses_dynamic_stack: false
    .vgpr_count:     256
    .vgpr_spill_count: 231
    .wavefront_size: 64
amdhsa.target:   amdgcn-amd-amdhsa--gfx906
amdhsa.version:
  - 1
  - 2
...

	.end_amdgpu_metadata
